;; amdgpu-corpus repo=triton-lang/triton kind=triton arch=gfx950 opt=O3 lang=triton
	.amdgcn_target "amdgcn-amd-amdhsa--gfx950"
	.amdhsa_code_object_version 5
	.text
	.globl	seeded_dropout_kernel           ; -- Begin function seeded_dropout_kernel
	.p2align	8
	.type	seeded_dropout_kernel,@function
seeded_dropout_kernel:                  ; @seeded_dropout_kernel
.Lfunc_begin0:
	.cfi_sections .debug_frame
	.cfi_startproc
; %bb.33:
	.file	1 "/root/src/amdgpu-assembly/repos/triton-lang__triton-aot" "dropout.py"
	.loc	1 7 0 prologue_end              ; dropout.py:7:0
	s_load_dwordx2 s[2:3], s[0:1], 0x0
	s_load_dwordx8 s[4:11], s[0:1], 0x8
	s_load_dwordx2 s[12:13], s[0:1], 0x28
	s_waitcnt lgkmcnt(0)
	s_branch .LBB0_0
	.loc	1 0 0 is_stmt 0                 ; :0:0
.Ltmp0:
	.p2align	8
; %bb.34:
.LBB0_0:
.Ltmp1:
	.loc	1 11 41 is_stmt 1               ; dropout.py:11:41
	v_readfirstlane_b32 s0, v0
	.loc	1 17 35                         ; dropout.py:17:35
	s_and_b32 s0, s0, 0x1c0
	.loc	1 13 16                         ; dropout.py:13:16
	v_mov_b32_e32 v16, 0
	.loc	1 11 41                         ; dropout.py:11:41
	v_and_or_b32 v0, v0, 63, s0
	.loc	1 11 28 is_stmt 0               ; dropout.py:11:28
	v_lshl_or_b32 v2, s14, 12, v0
	.loc	1 13 24 is_stmt 1               ; dropout.py:13:24
	v_ashrrev_i32_e32 v3, 31, v2
	.loc	1 12 21                         ; dropout.py:12:21
	v_cmp_gt_i32_e64 s[16:17], s6, v2
	.loc	1 13 24                         ; dropout.py:13:24
	v_lshl_add_u64 v[0:1], v[2:3], 2, s[2:3]
	v_mov_b32_e32 v19, v16
	.loc	1 13 16 is_stmt 0               ; dropout.py:13:16
	s_and_saveexec_b64 s[0:1], s[16:17]
	s_cbranch_execz .LBB0_2
; %bb.1:
	global_load_dword v19, v[0:1], off
.LBB0_2:
	.loc	1 0 16                          ; dropout.py:0:16
	s_or_b64 exec, exec, s[0:1]
	.loc	1 11 28 is_stmt 1               ; dropout.py:11:28
	v_or_b32_e32 v18, 0x200, v2
	.loc	1 12 21                         ; dropout.py:12:21
	v_cmp_gt_i32_e64 s[12:13], s6, v18
	.loc	1 13 16                         ; dropout.py:13:16
	s_and_saveexec_b64 s[0:1], s[12:13]
	s_cbranch_execz .LBB0_4
; %bb.3:
	global_load_dword v16, v[0:1], off offset:2048
.LBB0_4:
	.loc	1 0 16 is_stmt 0                ; dropout.py:0:16
	s_or_b64 exec, exec, s[0:1]
	.loc	1 11 28 is_stmt 1               ; dropout.py:11:28
	v_or_b32_e32 v17, 0x400, v2
	.loc	1 13 16                         ; dropout.py:13:16
	v_mov_b32_e32 v12, 0
	.loc	1 12 21                         ; dropout.py:12:21
	v_cmp_gt_i32_e64 s[10:11], s6, v17
	v_mov_b32_e32 v15, v12
	.loc	1 13 16                         ; dropout.py:13:16
	s_and_saveexec_b64 s[0:1], s[10:11]
	s_cbranch_execz .LBB0_6
; %bb.5:
	v_add_co_u32_e32 v4, vcc, 0x1000, v0
	s_nop 1
	v_addc_co_u32_e32 v5, vcc, 0, v1, vcc
	global_load_dword v15, v[4:5], off
.LBB0_6:
	.loc	1 0 16 is_stmt 0                ; dropout.py:0:16
	s_or_b64 exec, exec, s[0:1]
	.loc	1 11 28 is_stmt 1               ; dropout.py:11:28
	v_or_b32_e32 v14, 0x600, v2
	.loc	1 12 21                         ; dropout.py:12:21
	v_cmp_gt_i32_e64 s[20:21], s6, v14
	.loc	1 13 16                         ; dropout.py:13:16
	s_and_saveexec_b64 s[0:1], s[20:21]
	s_cbranch_execz .LBB0_8
; %bb.7:
	v_add_co_u32_e32 v4, vcc, 0x1000, v0
	s_nop 1
	v_addc_co_u32_e32 v5, vcc, 0, v1, vcc
	global_load_dword v12, v[4:5], off offset:2048
.LBB0_8:
	.loc	1 0 16 is_stmt 0                ; dropout.py:0:16
	s_or_b64 exec, exec, s[0:1]
	.loc	1 11 28 is_stmt 1               ; dropout.py:11:28
	v_or_b32_e32 v13, 0x800, v2
	.loc	1 13 16                         ; dropout.py:13:16
	v_mov_b32_e32 v8, 0
	.loc	1 12 21                         ; dropout.py:12:21
	v_cmp_gt_i32_e64 s[18:19], s6, v13
	v_mov_b32_e32 v11, v8
	.loc	1 13 16                         ; dropout.py:13:16
	s_and_saveexec_b64 s[0:1], s[18:19]
	s_cbranch_execz .LBB0_10
; %bb.9:
	v_add_co_u32_e32 v4, vcc, 0x2000, v0
	s_nop 1
	v_addc_co_u32_e32 v5, vcc, 0, v1, vcc
	global_load_dword v11, v[4:5], off
.LBB0_10:
	.loc	1 0 16 is_stmt 0                ; dropout.py:0:16
	s_or_b64 exec, exec, s[0:1]
	.loc	1 11 28 is_stmt 1               ; dropout.py:11:28
	v_or_b32_e32 v10, 0xa00, v2
	.loc	1 12 21                         ; dropout.py:12:21
	v_cmp_gt_i32_e64 s[14:15], s6, v10
	.loc	1 13 16                         ; dropout.py:13:16
	s_and_saveexec_b64 s[0:1], s[14:15]
	s_cbranch_execz .LBB0_12
; %bb.11:
	v_add_co_u32_e32 v4, vcc, 0x2000, v0
	s_nop 1
	v_addc_co_u32_e32 v5, vcc, 0, v1, vcc
	global_load_dword v8, v[4:5], off offset:2048
.LBB0_12:
	;; [unrolled: 33-line block ×3, first 2 shown]
	.loc	1 0 16 is_stmt 0                ; dropout.py:0:16
	s_or_b64 exec, exec, s[22:23]
.Ltmp2:
	.file	2 "/root/.local/lib/python3.13/site-packages/triton/language" "random.py"
	.loc	2 57 49 is_stmt 1               ; random.py:57:49 @[ random.py:110:54 @[ random.py:84:43 @[ random.py:155:35 @[ dropout.py:14:27 ] ] ] ]
	s_ashr_i32 s38, s8, 31
.Ltmp3:
	.loc	2 40 24                         ; random.py:40:24 @[ random.py:69:57 @[ random.py:110:54 @[ random.py:84:43 @[ random.py:155:35 @[ dropout.py:14:27 ] ] ] ] ]
	s_add_i32 s35, s8, 0x9e3779b9
	.loc	2 41 24                         ; random.py:41:24 @[ random.py:69:57 @[ random.py:110:54 @[ random.py:84:43 @[ random.py:155:35 @[ dropout.py:14:27 ] ] ] ] ]
	s_add_i32 s36, s38, 0xbb67ae85
	s_mov_b32 s39, 0xd2511f53
	.loc	2 36 28                         ; random.py:36:28 @[ random.py:69:57 @[ random.py:110:54 @[ random.py:84:43 @[ random.py:155:35 @[ dropout.py:14:27 ] ] ] ] ]
	s_mul_hi_u32 s37, s8, 0xd2511f53
	.loc	2 38 23                         ; random.py:38:23 @[ random.py:69:57 @[ random.py:110:54 @[ random.py:84:43 @[ random.py:155:35 @[ dropout.py:14:27 ] ] ] ] ]
	s_mul_i32 s31, s8, 0xd2511f53
	.loc	2 40 24                         ; random.py:40:24 @[ random.py:69:57 @[ random.py:110:54 @[ random.py:84:43 @[ random.py:155:35 @[ dropout.py:14:27 ] ] ] ] ]
	s_add_i32 s34, s8, 0x3c6ef372
	.loc	2 41 24                         ; random.py:41:24 @[ random.py:69:57 @[ random.py:110:54 @[ random.py:84:43 @[ random.py:155:35 @[ dropout.py:14:27 ] ] ] ] ]
	s_add_i32 s33, s38, 0x76cf5d0a
	;; [unrolled: 2-line block ×12, first 2 shown]
	s_add_i32 s6, s38, 0xdb3d7428
	.loc	2 40 24                         ; random.py:40:24 @[ random.py:69:57 @[ random.py:110:54 @[ random.py:84:43 @[ random.py:155:35 @[ dropout.py:14:27 ] ] ] ] ]
	s_add_i32 s8, s8, 0x8ff34781
.Ltmp4:
	.loc	1 16 39                         ; dropout.py:16:39
	v_sub_f32_e64 v5, 1.0, s7
	.loc	1 17 26                         ; dropout.py:17:26
	v_lshl_add_u64 v[0:1], v[2:3], 2, s[4:5]
	.loc	1 17 35 is_stmt 0               ; dropout.py:17:35
	s_and_saveexec_b64 s[4:5], s[16:17]
	s_cbranch_execnz .LBB0_25
; %bb.17:
	.loc	1 0 35                          ; dropout.py:0:35
	s_or_b64 exec, exec, s[4:5]
	.loc	1 17 35                         ; dropout.py:17:35
	s_and_saveexec_b64 s[4:5], s[12:13]
	s_cbranch_execnz .LBB0_26
.LBB0_18:
	.loc	1 0 35                          ; dropout.py:0:35
	s_or_b64 exec, exec, s[4:5]
	.loc	1 17 35                         ; dropout.py:17:35
	s_and_saveexec_b64 s[4:5], s[10:11]
	s_cbranch_execnz .LBB0_27
.LBB0_19:
	.loc	1 0 35                          ; dropout.py:0:35
	s_or_b64 exec, exec, s[4:5]
	.loc	1 17 35                         ; dropout.py:17:35
	s_and_saveexec_b64 s[4:5], s[20:21]
	s_cbranch_execnz .LBB0_28
.LBB0_20:
	.loc	1 0 35                          ; dropout.py:0:35
	s_or_b64 exec, exec, s[4:5]
	.loc	1 17 35                         ; dropout.py:17:35
	s_and_saveexec_b64 s[4:5], s[18:19]
	s_cbranch_execnz .LBB0_29
.LBB0_21:
	.loc	1 0 35                          ; dropout.py:0:35
	s_or_b64 exec, exec, s[4:5]
	.loc	1 17 35                         ; dropout.py:17:35
	s_and_saveexec_b64 s[4:5], s[14:15]
	s_cbranch_execnz .LBB0_30
.LBB0_22:
	.loc	1 0 35                          ; dropout.py:0:35
	s_or_b64 exec, exec, s[4:5]
	.loc	1 17 35                         ; dropout.py:17:35
	s_and_saveexec_b64 s[4:5], s[2:3]
	s_cbranch_execnz .LBB0_31
.LBB0_23:
	.loc	1 0 35                          ; dropout.py:0:35
	s_or_b64 exec, exec, s[4:5]
	.loc	1 17 35                         ; dropout.py:17:35
	s_and_saveexec_b64 s[2:3], s[0:1]
	s_cbranch_execnz .LBB0_32
.LBB0_24:
	.loc	1 17 4                          ; dropout.py:17:4
	s_endpgm
.LBB0_25:
.Ltmp5:
	.loc	2 36 28 is_stmt 1               ; random.py:36:28 @[ random.py:69:57 @[ random.py:110:54 @[ random.py:84:43 @[ random.py:155:35 @[ dropout.py:14:27 ] ] ] ] ]
	v_mul_hi_u32 v3, v2, s39
	.loc	2 36 40 is_stmt 0               ; random.py:36:40 @[ random.py:69:57 @[ random.py:110:54 @[ random.py:84:43 @[ random.py:155:35 @[ dropout.py:14:27 ] ] ] ] ]
	v_xor_b32_e32 v3, s38, v3
	s_mov_b32 s16, 0xcd9e8d57
	.loc	2 35 28 is_stmt 1               ; random.py:35:28 @[ random.py:69:57 @[ random.py:110:54 @[ random.py:84:43 @[ random.py:155:35 @[ dropout.py:14:27 ] ] ] ] ]
	v_mul_hi_u32 v20, v3, s16
	.loc	2 35 40 is_stmt 0               ; random.py:35:40 @[ random.py:69:57 @[ random.py:110:54 @[ random.py:84:43 @[ random.py:155:35 @[ dropout.py:14:27 ] ] ] ] ]
	v_xor_b32_e32 v20, s35, v20
	.loc	2 36 28 is_stmt 1               ; random.py:36:28 @[ random.py:69:57 @[ random.py:110:54 @[ random.py:84:43 @[ random.py:155:35 @[ dropout.py:14:27 ] ] ] ] ]
	v_mul_hi_u32 v21, v20, s39
	.loc	2 36 40 is_stmt 0               ; random.py:36:40 @[ random.py:69:57 @[ random.py:110:54 @[ random.py:84:43 @[ random.py:155:35 @[ dropout.py:14:27 ] ] ] ] ]
	s_xor_b32 s17, s33, s31
	v_xor_b32_e32 v21, s17, v21
	.loc	2 38 23 is_stmt 1               ; random.py:38:23 @[ random.py:69:57 @[ random.py:110:54 @[ random.py:84:43 @[ random.py:155:35 @[ dropout.py:14:27 ] ] ] ] ]
	v_mul_lo_u32 v2, v2, s39
	.loc	2 36 40                         ; random.py:36:40 @[ random.py:69:57 @[ random.py:110:54 @[ random.py:84:43 @[ random.py:155:35 @[ dropout.py:14:27 ] ] ] ] ]
	s_xor_b32 s17, s36, s37
	v_xor_b32_e32 v2, s17, v2
	.loc	2 35 28                         ; random.py:35:28 @[ random.py:69:57 @[ random.py:110:54 @[ random.py:84:43 @[ random.py:155:35 @[ dropout.py:14:27 ] ] ] ] ]
	v_mul_hi_u32 v22, v21, s16
	.loc	2 37 23                         ; random.py:37:23 @[ random.py:69:57 @[ random.py:110:54 @[ random.py:84:43 @[ random.py:155:35 @[ dropout.py:14:27 ] ] ] ] ]
	v_mul_lo_u32 v23, v2, s16
	.loc	2 35 28                         ; random.py:35:28 @[ random.py:69:57 @[ random.py:110:54 @[ random.py:84:43 @[ random.py:155:35 @[ dropout.py:14:27 ] ] ] ] ]
	v_mul_hi_u32 v2, v2, s16
	.loc	2 37 23                         ; random.py:37:23 @[ random.py:69:57 @[ random.py:110:54 @[ random.py:84:43 @[ random.py:155:35 @[ dropout.py:14:27 ] ] ] ] ]
	v_mul_lo_u32 v3, v3, s16
	.loc	2 35 40                         ; random.py:35:40 @[ random.py:69:57 @[ random.py:110:54 @[ random.py:84:43 @[ random.py:155:35 @[ dropout.py:14:27 ] ] ] ] ]
	v_xor_b32_e32 v22, v23, v22
	v_xor_b32_e32 v2, v3, v2
	v_xor_b32_e32 v22, s30, v22
	v_xor_b32_e32 v2, s34, v2
	.loc	2 36 28                         ; random.py:36:28 @[ random.py:69:57 @[ random.py:110:54 @[ random.py:84:43 @[ random.py:155:35 @[ dropout.py:14:27 ] ] ] ] ]
	v_mul_hi_u32 v23, v22, s39
	.loc	2 38 23                         ; random.py:38:23 @[ random.py:69:57 @[ random.py:110:54 @[ random.py:84:43 @[ random.py:155:35 @[ dropout.py:14:27 ] ] ] ] ]
	v_mul_lo_u32 v3, v2, s39
	.loc	2 36 28                         ; random.py:36:28 @[ random.py:69:57 @[ random.py:110:54 @[ random.py:84:43 @[ random.py:155:35 @[ dropout.py:14:27 ] ] ] ] ]
	v_mul_hi_u32 v2, v2, s39
	.loc	2 38 23                         ; random.py:38:23 @[ random.py:69:57 @[ random.py:110:54 @[ random.py:84:43 @[ random.py:155:35 @[ dropout.py:14:27 ] ] ] ] ]
	v_mul_lo_u32 v20, v20, s39
	.loc	2 36 40                         ; random.py:36:40 @[ random.py:69:57 @[ random.py:110:54 @[ random.py:84:43 @[ random.py:155:35 @[ dropout.py:14:27 ] ] ] ] ]
	v_xor_b32_e32 v3, v3, v23
	v_xor_b32_e32 v2, v20, v2
	v_xor_b32_e32 v3, s27, v3
	;; [unrolled: 13-line block ×6, first 2 shown]
	v_xor_b32_e32 v2, s9, v2
	.loc	2 35 28                         ; random.py:35:28 @[ random.py:69:57 @[ random.py:110:54 @[ random.py:84:43 @[ random.py:155:35 @[ dropout.py:14:27 ] ] ] ] ]
	v_mul_hi_u32 v3, v3, s16
	.loc	2 37 23                         ; random.py:37:23 @[ random.py:69:57 @[ random.py:110:54 @[ random.py:84:43 @[ random.py:155:35 @[ dropout.py:14:27 ] ] ] ] ]
	v_mul_lo_u32 v2, v2, s16
	.loc	2 35 40                         ; random.py:35:40 @[ random.py:69:57 @[ random.py:110:54 @[ random.py:84:43 @[ random.py:155:35 @[ dropout.py:14:27 ] ] ] ] ]
	v_xor_b32_e32 v2, v2, v3
	v_xor_b32_e32 v2, s8, v2
.Ltmp6:
	.loc	2 142 32                        ; random.py:142:32 @[ random.py:156:33 @[ dropout.py:14:27 ] ]
	v_ashrrev_i32_e32 v3, 31, v2
	v_xor_b32_e32 v2, v3, v2
.Ltmp7:
	.loc	1 16 35                         ; dropout.py:16:35
	s_waitcnt vmcnt(0)
	v_div_scale_f32 v3, s[16:17], v5, v5, v19
	v_rcp_f32_e32 v20, v3
.Ltmp8:
	.loc	2 143 15                        ; random.py:143:15 @[ random.py:156:33 @[ dropout.py:14:27 ] ]
	v_cvt_f32_i32_e32 v2, v2
.Ltmp9:
	.loc	1 16 35                         ; dropout.py:16:35
	v_fma_f32 v21, -v3, v20, 1.0
	v_fmac_f32_e32 v20, v21, v20
	v_div_scale_f32 v21, vcc, v19, v5, v19
	v_mul_f32_e32 v22, v21, v20
	v_fma_f32 v23, -v3, v22, v21
	v_fmac_f32_e32 v22, v23, v20
	v_fma_f32 v3, -v3, v22, v21
.Ltmp10:
	.loc	2 143 15                        ; random.py:143:15 @[ random.py:156:33 @[ dropout.py:14:27 ] ]
	v_mul_f32_e32 v2, 0x2fffffff, v2
.Ltmp11:
	.loc	1 16 35                         ; dropout.py:16:35
	v_div_fmas_f32 v3, v3, v20, v22
	v_div_fixup_f32 v3, v3, v5, v19
	.loc	1 15 22                         ; dropout.py:15:22
	v_cmp_lt_f32_e32 vcc, s7, v2
	.loc	1 16 43                         ; dropout.py:16:43
	s_nop 1
	v_cndmask_b32_e32 v2, 0, v3, vcc
	.loc	1 17 35                         ; dropout.py:17:35
	global_store_dword v[0:1], v2, off
	s_or_b64 exec, exec, s[4:5]
	s_and_saveexec_b64 s[4:5], s[12:13]
	s_cbranch_execz .LBB0_18
.LBB0_26:
	.loc	1 0 35 is_stmt 0                ; dropout.py:0:35
	s_mov_b32 s12, 0xd2511f53
.Ltmp12:
	.loc	2 36 28 is_stmt 1               ; random.py:36:28 @[ random.py:69:57 @[ random.py:110:54 @[ random.py:84:43 @[ random.py:155:35 @[ dropout.py:14:27 ] ] ] ] ]
	v_mul_hi_u32 v2, v18, s12
	.loc	2 36 40 is_stmt 0               ; random.py:36:40 @[ random.py:69:57 @[ random.py:110:54 @[ random.py:84:43 @[ random.py:155:35 @[ dropout.py:14:27 ] ] ] ] ]
	v_xor_b32_e32 v2, s38, v2
	.loc	2 38 23 is_stmt 1               ; random.py:38:23 @[ random.py:69:57 @[ random.py:110:54 @[ random.py:84:43 @[ random.py:155:35 @[ dropout.py:14:27 ] ] ] ] ]
	v_mul_lo_u32 v3, v18, s12
	s_mov_b32 s13, 0xcd9e8d57
	.loc	2 36 40                         ; random.py:36:40 @[ random.py:69:57 @[ random.py:110:54 @[ random.py:84:43 @[ random.py:155:35 @[ dropout.py:14:27 ] ] ] ] ]
	s_xor_b32 s16, s36, s37
	.loc	2 35 28                         ; random.py:35:28 @[ random.py:69:57 @[ random.py:110:54 @[ random.py:84:43 @[ random.py:155:35 @[ dropout.py:14:27 ] ] ] ] ]
	v_mul_hi_u32 v18, v2, s13
	.loc	2 36 40                         ; random.py:36:40 @[ random.py:69:57 @[ random.py:110:54 @[ random.py:84:43 @[ random.py:155:35 @[ dropout.py:14:27 ] ] ] ] ]
	v_xor_b32_e32 v3, s16, v3
	.loc	2 35 40                         ; random.py:35:40 @[ random.py:69:57 @[ random.py:110:54 @[ random.py:84:43 @[ random.py:155:35 @[ dropout.py:14:27 ] ] ] ] ]
	v_xor_b32_e32 v18, s35, v18
	.loc	2 37 23                         ; random.py:37:23 @[ random.py:69:57 @[ random.py:110:54 @[ random.py:84:43 @[ random.py:155:35 @[ dropout.py:14:27 ] ] ] ] ]
	v_mul_lo_u32 v2, v2, s13
	.loc	2 35 28                         ; random.py:35:28 @[ random.py:69:57 @[ random.py:110:54 @[ random.py:84:43 @[ random.py:155:35 @[ dropout.py:14:27 ] ] ] ] ]
	s_waitcnt vmcnt(0)
	v_mul_hi_u32 v19, v3, s13
	.loc	2 35 40 is_stmt 0               ; random.py:35:40 @[ random.py:69:57 @[ random.py:110:54 @[ random.py:84:43 @[ random.py:155:35 @[ dropout.py:14:27 ] ] ] ] ]
	v_xor_b32_e32 v2, v2, v19
	.loc	2 36 28 is_stmt 1               ; random.py:36:28 @[ random.py:69:57 @[ random.py:110:54 @[ random.py:84:43 @[ random.py:155:35 @[ dropout.py:14:27 ] ] ] ] ]
	v_mul_hi_u32 v19, v18, s12
	.loc	2 36 40 is_stmt 0               ; random.py:36:40 @[ random.py:69:57 @[ random.py:110:54 @[ random.py:84:43 @[ random.py:155:35 @[ dropout.py:14:27 ] ] ] ] ]
	s_xor_b32 s16, s33, s31
	v_xor_b32_e32 v19, s16, v19
	.loc	2 35 40 is_stmt 1               ; random.py:35:40 @[ random.py:69:57 @[ random.py:110:54 @[ random.py:84:43 @[ random.py:155:35 @[ dropout.py:14:27 ] ] ] ] ]
	v_xor_b32_e32 v2, s34, v2
	.loc	2 37 23                         ; random.py:37:23 @[ random.py:69:57 @[ random.py:110:54 @[ random.py:84:43 @[ random.py:155:35 @[ dropout.py:14:27 ] ] ] ] ]
	v_mul_lo_u32 v3, v3, s13
	.loc	2 35 28                         ; random.py:35:28 @[ random.py:69:57 @[ random.py:110:54 @[ random.py:84:43 @[ random.py:155:35 @[ dropout.py:14:27 ] ] ] ] ]
	v_mul_hi_u32 v20, v19, s13
	.loc	2 38 23                         ; random.py:38:23 @[ random.py:69:57 @[ random.py:110:54 @[ random.py:84:43 @[ random.py:155:35 @[ dropout.py:14:27 ] ] ] ] ]
	v_mul_lo_u32 v18, v18, s12
	.loc	2 35 40                         ; random.py:35:40 @[ random.py:69:57 @[ random.py:110:54 @[ random.py:84:43 @[ random.py:155:35 @[ dropout.py:14:27 ] ] ] ] ]
	v_xor_b32_e32 v3, v3, v20
	.loc	2 36 28                         ; random.py:36:28 @[ random.py:69:57 @[ random.py:110:54 @[ random.py:84:43 @[ random.py:155:35 @[ dropout.py:14:27 ] ] ] ] ]
	v_mul_hi_u32 v20, v2, s12
	.loc	2 36 40 is_stmt 0               ; random.py:36:40 @[ random.py:69:57 @[ random.py:110:54 @[ random.py:84:43 @[ random.py:155:35 @[ dropout.py:14:27 ] ] ] ] ]
	v_xor_b32_e32 v18, v18, v20
	v_xor_b32_e32 v18, s29, v18
	.loc	2 35 40 is_stmt 1               ; random.py:35:40 @[ random.py:69:57 @[ random.py:110:54 @[ random.py:84:43 @[ random.py:155:35 @[ dropout.py:14:27 ] ] ] ] ]
	v_xor_b32_e32 v3, s30, v3
	.loc	2 37 23                         ; random.py:37:23 @[ random.py:69:57 @[ random.py:110:54 @[ random.py:84:43 @[ random.py:155:35 @[ dropout.py:14:27 ] ] ] ] ]
	v_mul_lo_u32 v19, v19, s13
	.loc	2 35 28                         ; random.py:35:28 @[ random.py:69:57 @[ random.py:110:54 @[ random.py:84:43 @[ random.py:155:35 @[ dropout.py:14:27 ] ] ] ] ]
	v_mul_hi_u32 v20, v18, s13
	.loc	2 38 23                         ; random.py:38:23 @[ random.py:69:57 @[ random.py:110:54 @[ random.py:84:43 @[ random.py:155:35 @[ dropout.py:14:27 ] ] ] ] ]
	v_mul_lo_u32 v2, v2, s12
	.loc	2 35 40                         ; random.py:35:40 @[ random.py:69:57 @[ random.py:110:54 @[ random.py:84:43 @[ random.py:155:35 @[ dropout.py:14:27 ] ] ] ] ]
	v_xor_b32_e32 v19, v19, v20
	.loc	2 36 28                         ; random.py:36:28 @[ random.py:69:57 @[ random.py:110:54 @[ random.py:84:43 @[ random.py:155:35 @[ dropout.py:14:27 ] ] ] ] ]
	v_mul_hi_u32 v20, v3, s12
	.loc	2 36 40 is_stmt 0               ; random.py:36:40 @[ random.py:69:57 @[ random.py:110:54 @[ random.py:84:43 @[ random.py:155:35 @[ dropout.py:14:27 ] ] ] ] ]
	v_xor_b32_e32 v2, v2, v20
	;; [unrolled: 15-line block ×4, first 2 shown]
	v_xor_b32_e32 v19, s23, v19
	.loc	2 37 23 is_stmt 1               ; random.py:37:23 @[ random.py:69:57 @[ random.py:110:54 @[ random.py:84:43 @[ random.py:155:35 @[ dropout.py:14:27 ] ] ] ] ]
	v_mul_lo_u32 v3, v3, s13
	.loc	2 35 28                         ; random.py:35:28 @[ random.py:69:57 @[ random.py:110:54 @[ random.py:84:43 @[ random.py:155:35 @[ dropout.py:14:27 ] ] ] ] ]
	v_mul_hi_u32 v19, v19, s13
	.loc	2 35 40 is_stmt 0               ; random.py:35:40 @[ random.py:69:57 @[ random.py:110:54 @[ random.py:84:43 @[ random.py:155:35 @[ dropout.py:14:27 ] ] ] ] ]
	v_xor_b32_e32 v3, v3, v19
	v_xor_b32_e32 v2, s24, v2
	;; [unrolled: 1-line block ×3, first 2 shown]
	.loc	2 38 23 is_stmt 1               ; random.py:38:23 @[ random.py:69:57 @[ random.py:110:54 @[ random.py:84:43 @[ random.py:155:35 @[ dropout.py:14:27 ] ] ] ] ]
	v_mul_lo_u32 v18, v18, s12
	.loc	2 36 28                         ; random.py:36:28 @[ random.py:69:57 @[ random.py:110:54 @[ random.py:84:43 @[ random.py:155:35 @[ dropout.py:14:27 ] ] ] ] ]
	v_mul_hi_u32 v19, v2, s12
	.loc	2 38 23                         ; random.py:38:23 @[ random.py:69:57 @[ random.py:110:54 @[ random.py:84:43 @[ random.py:155:35 @[ dropout.py:14:27 ] ] ] ] ]
	v_mul_lo_u32 v2, v2, s12
	.loc	2 36 28                         ; random.py:36:28 @[ random.py:69:57 @[ random.py:110:54 @[ random.py:84:43 @[ random.py:155:35 @[ dropout.py:14:27 ] ] ] ] ]
	v_mul_hi_u32 v3, v3, s12
	.loc	2 36 40 is_stmt 0               ; random.py:36:40 @[ random.py:69:57 @[ random.py:110:54 @[ random.py:84:43 @[ random.py:155:35 @[ dropout.py:14:27 ] ] ] ] ]
	v_xor_b32_e32 v18, v18, v19
	v_xor_b32_e32 v2, v2, v3
	;; [unrolled: 1-line block ×4, first 2 shown]
	.loc	2 37 23 is_stmt 1               ; random.py:37:23 @[ random.py:69:57 @[ random.py:110:54 @[ random.py:84:43 @[ random.py:155:35 @[ dropout.py:14:27 ] ] ] ] ]
	v_mul_lo_u32 v3, v18, s13
	.loc	2 35 28                         ; random.py:35:28 @[ random.py:69:57 @[ random.py:110:54 @[ random.py:84:43 @[ random.py:155:35 @[ dropout.py:14:27 ] ] ] ] ]
	v_mul_hi_u32 v2, v2, s13
	.loc	2 35 40 is_stmt 0               ; random.py:35:40 @[ random.py:69:57 @[ random.py:110:54 @[ random.py:84:43 @[ random.py:155:35 @[ dropout.py:14:27 ] ] ] ] ]
	v_xor_b32_e32 v2, v3, v2
	v_xor_b32_e32 v2, s8, v2
.Ltmp13:
	.loc	2 142 32 is_stmt 1              ; random.py:142:32 @[ random.py:156:33 @[ dropout.py:14:27 ] ]
	v_ashrrev_i32_e32 v3, 31, v2
	v_xor_b32_e32 v2, v3, v2
.Ltmp14:
	.loc	1 16 35                         ; dropout.py:16:35
	v_div_scale_f32 v3, s[12:13], v5, v5, v16
	v_rcp_f32_e32 v18, v3
.Ltmp15:
	.loc	2 143 15                        ; random.py:143:15 @[ random.py:156:33 @[ dropout.py:14:27 ] ]
	v_cvt_f32_i32_e32 v2, v2
.Ltmp16:
	.loc	1 16 35                         ; dropout.py:16:35
	v_fma_f32 v19, -v3, v18, 1.0
	v_fmac_f32_e32 v18, v19, v18
	v_div_scale_f32 v19, vcc, v16, v5, v16
	v_mul_f32_e32 v20, v19, v18
	v_fma_f32 v21, -v3, v20, v19
	v_fmac_f32_e32 v20, v21, v18
	v_fma_f32 v3, -v3, v20, v19
.Ltmp17:
	.loc	2 143 15                        ; random.py:143:15 @[ random.py:156:33 @[ dropout.py:14:27 ] ]
	v_mul_f32_e32 v2, 0x2fffffff, v2
.Ltmp18:
	.loc	1 16 35                         ; dropout.py:16:35
	v_div_fmas_f32 v3, v3, v18, v20
	v_div_fixup_f32 v3, v3, v5, v16
	.loc	1 15 22                         ; dropout.py:15:22
	v_cmp_lt_f32_e32 vcc, s7, v2
	.loc	1 16 43                         ; dropout.py:16:43
	s_nop 1
	v_cndmask_b32_e32 v2, 0, v3, vcc
	.loc	1 17 35                         ; dropout.py:17:35
	global_store_dword v[0:1], v2, off offset:2048
	s_or_b64 exec, exec, s[4:5]
	s_and_saveexec_b64 s[4:5], s[10:11]
	s_cbranch_execz .LBB0_19
.LBB0_27:
	.loc	1 0 35 is_stmt 0                ; dropout.py:0:35
	s_mov_b32 s10, 0xd2511f53
.Ltmp19:
	.loc	2 36 28 is_stmt 1               ; random.py:36:28 @[ random.py:69:57 @[ random.py:110:54 @[ random.py:84:43 @[ random.py:155:35 @[ dropout.py:14:27 ] ] ] ] ]
	v_mul_hi_u32 v2, v17, s10
	.loc	2 36 40 is_stmt 0               ; random.py:36:40 @[ random.py:69:57 @[ random.py:110:54 @[ random.py:84:43 @[ random.py:155:35 @[ dropout.py:14:27 ] ] ] ] ]
	v_xor_b32_e32 v2, s38, v2
	.loc	2 38 23 is_stmt 1               ; random.py:38:23 @[ random.py:69:57 @[ random.py:110:54 @[ random.py:84:43 @[ random.py:155:35 @[ dropout.py:14:27 ] ] ] ] ]
	v_mul_lo_u32 v3, v17, s10
	s_mov_b32 s11, 0xcd9e8d57
	.loc	2 36 40                         ; random.py:36:40 @[ random.py:69:57 @[ random.py:110:54 @[ random.py:84:43 @[ random.py:155:35 @[ dropout.py:14:27 ] ] ] ] ]
	s_xor_b32 s12, s36, s37
	.loc	2 35 28                         ; random.py:35:28 @[ random.py:69:57 @[ random.py:110:54 @[ random.py:84:43 @[ random.py:155:35 @[ dropout.py:14:27 ] ] ] ] ]
	s_waitcnt vmcnt(0)
	v_mul_hi_u32 v16, v2, s11
	.loc	2 36 40                         ; random.py:36:40 @[ random.py:69:57 @[ random.py:110:54 @[ random.py:84:43 @[ random.py:155:35 @[ dropout.py:14:27 ] ] ] ] ]
	v_xor_b32_e32 v3, s12, v3
	.loc	2 35 40                         ; random.py:35:40 @[ random.py:69:57 @[ random.py:110:54 @[ random.py:84:43 @[ random.py:155:35 @[ dropout.py:14:27 ] ] ] ] ]
	v_xor_b32_e32 v16, s35, v16
	.loc	2 37 23                         ; random.py:37:23 @[ random.py:69:57 @[ random.py:110:54 @[ random.py:84:43 @[ random.py:155:35 @[ dropout.py:14:27 ] ] ] ] ]
	v_mul_lo_u32 v2, v2, s11
	.loc	2 35 28                         ; random.py:35:28 @[ random.py:69:57 @[ random.py:110:54 @[ random.py:84:43 @[ random.py:155:35 @[ dropout.py:14:27 ] ] ] ] ]
	v_mul_hi_u32 v17, v3, s11
	.loc	2 35 40 is_stmt 0               ; random.py:35:40 @[ random.py:69:57 @[ random.py:110:54 @[ random.py:84:43 @[ random.py:155:35 @[ dropout.py:14:27 ] ] ] ] ]
	v_xor_b32_e32 v2, v2, v17
	.loc	2 36 28 is_stmt 1               ; random.py:36:28 @[ random.py:69:57 @[ random.py:110:54 @[ random.py:84:43 @[ random.py:155:35 @[ dropout.py:14:27 ] ] ] ] ]
	v_mul_hi_u32 v17, v16, s10
	.loc	2 36 40 is_stmt 0               ; random.py:36:40 @[ random.py:69:57 @[ random.py:110:54 @[ random.py:84:43 @[ random.py:155:35 @[ dropout.py:14:27 ] ] ] ] ]
	s_xor_b32 s12, s33, s31
	v_xor_b32_e32 v17, s12, v17
	.loc	2 35 40 is_stmt 1               ; random.py:35:40 @[ random.py:69:57 @[ random.py:110:54 @[ random.py:84:43 @[ random.py:155:35 @[ dropout.py:14:27 ] ] ] ] ]
	v_xor_b32_e32 v2, s34, v2
	.loc	2 37 23                         ; random.py:37:23 @[ random.py:69:57 @[ random.py:110:54 @[ random.py:84:43 @[ random.py:155:35 @[ dropout.py:14:27 ] ] ] ] ]
	v_mul_lo_u32 v3, v3, s11
	.loc	2 35 28                         ; random.py:35:28 @[ random.py:69:57 @[ random.py:110:54 @[ random.py:84:43 @[ random.py:155:35 @[ dropout.py:14:27 ] ] ] ] ]
	v_mul_hi_u32 v18, v17, s11
	.loc	2 38 23                         ; random.py:38:23 @[ random.py:69:57 @[ random.py:110:54 @[ random.py:84:43 @[ random.py:155:35 @[ dropout.py:14:27 ] ] ] ] ]
	v_mul_lo_u32 v16, v16, s10
	.loc	2 35 40                         ; random.py:35:40 @[ random.py:69:57 @[ random.py:110:54 @[ random.py:84:43 @[ random.py:155:35 @[ dropout.py:14:27 ] ] ] ] ]
	v_xor_b32_e32 v3, v3, v18
	.loc	2 36 28                         ; random.py:36:28 @[ random.py:69:57 @[ random.py:110:54 @[ random.py:84:43 @[ random.py:155:35 @[ dropout.py:14:27 ] ] ] ] ]
	v_mul_hi_u32 v18, v2, s10
	.loc	2 36 40 is_stmt 0               ; random.py:36:40 @[ random.py:69:57 @[ random.py:110:54 @[ random.py:84:43 @[ random.py:155:35 @[ dropout.py:14:27 ] ] ] ] ]
	v_xor_b32_e32 v16, v16, v18
	v_xor_b32_e32 v16, s29, v16
	.loc	2 35 40 is_stmt 1               ; random.py:35:40 @[ random.py:69:57 @[ random.py:110:54 @[ random.py:84:43 @[ random.py:155:35 @[ dropout.py:14:27 ] ] ] ] ]
	v_xor_b32_e32 v3, s30, v3
	.loc	2 37 23                         ; random.py:37:23 @[ random.py:69:57 @[ random.py:110:54 @[ random.py:84:43 @[ random.py:155:35 @[ dropout.py:14:27 ] ] ] ] ]
	v_mul_lo_u32 v17, v17, s11
	.loc	2 35 28                         ; random.py:35:28 @[ random.py:69:57 @[ random.py:110:54 @[ random.py:84:43 @[ random.py:155:35 @[ dropout.py:14:27 ] ] ] ] ]
	v_mul_hi_u32 v18, v16, s11
	.loc	2 38 23                         ; random.py:38:23 @[ random.py:69:57 @[ random.py:110:54 @[ random.py:84:43 @[ random.py:155:35 @[ dropout.py:14:27 ] ] ] ] ]
	v_mul_lo_u32 v2, v2, s10
	.loc	2 35 40                         ; random.py:35:40 @[ random.py:69:57 @[ random.py:110:54 @[ random.py:84:43 @[ random.py:155:35 @[ dropout.py:14:27 ] ] ] ] ]
	v_xor_b32_e32 v17, v17, v18
	.loc	2 36 28                         ; random.py:36:28 @[ random.py:69:57 @[ random.py:110:54 @[ random.py:84:43 @[ random.py:155:35 @[ dropout.py:14:27 ] ] ] ] ]
	v_mul_hi_u32 v18, v3, s10
	.loc	2 36 40 is_stmt 0               ; random.py:36:40 @[ random.py:69:57 @[ random.py:110:54 @[ random.py:84:43 @[ random.py:155:35 @[ dropout.py:14:27 ] ] ] ] ]
	v_xor_b32_e32 v2, v2, v18
	;; [unrolled: 15-line block ×4, first 2 shown]
	v_xor_b32_e32 v17, s23, v17
	.loc	2 37 23 is_stmt 1               ; random.py:37:23 @[ random.py:69:57 @[ random.py:110:54 @[ random.py:84:43 @[ random.py:155:35 @[ dropout.py:14:27 ] ] ] ] ]
	v_mul_lo_u32 v3, v3, s11
	.loc	2 35 28                         ; random.py:35:28 @[ random.py:69:57 @[ random.py:110:54 @[ random.py:84:43 @[ random.py:155:35 @[ dropout.py:14:27 ] ] ] ] ]
	v_mul_hi_u32 v17, v17, s11
	.loc	2 35 40 is_stmt 0               ; random.py:35:40 @[ random.py:69:57 @[ random.py:110:54 @[ random.py:84:43 @[ random.py:155:35 @[ dropout.py:14:27 ] ] ] ] ]
	v_xor_b32_e32 v3, v3, v17
	v_xor_b32_e32 v2, s24, v2
	;; [unrolled: 1-line block ×3, first 2 shown]
	.loc	2 38 23 is_stmt 1               ; random.py:38:23 @[ random.py:69:57 @[ random.py:110:54 @[ random.py:84:43 @[ random.py:155:35 @[ dropout.py:14:27 ] ] ] ] ]
	v_mul_lo_u32 v16, v16, s10
	.loc	2 36 28                         ; random.py:36:28 @[ random.py:69:57 @[ random.py:110:54 @[ random.py:84:43 @[ random.py:155:35 @[ dropout.py:14:27 ] ] ] ] ]
	v_mul_hi_u32 v17, v2, s10
	.loc	2 38 23                         ; random.py:38:23 @[ random.py:69:57 @[ random.py:110:54 @[ random.py:84:43 @[ random.py:155:35 @[ dropout.py:14:27 ] ] ] ] ]
	v_mul_lo_u32 v2, v2, s10
	.loc	2 36 28                         ; random.py:36:28 @[ random.py:69:57 @[ random.py:110:54 @[ random.py:84:43 @[ random.py:155:35 @[ dropout.py:14:27 ] ] ] ] ]
	v_mul_hi_u32 v3, v3, s10
	.loc	2 36 40 is_stmt 0               ; random.py:36:40 @[ random.py:69:57 @[ random.py:110:54 @[ random.py:84:43 @[ random.py:155:35 @[ dropout.py:14:27 ] ] ] ] ]
	v_xor_b32_e32 v16, v16, v17
	v_xor_b32_e32 v2, v2, v3
	;; [unrolled: 1-line block ×4, first 2 shown]
	.loc	2 37 23 is_stmt 1               ; random.py:37:23 @[ random.py:69:57 @[ random.py:110:54 @[ random.py:84:43 @[ random.py:155:35 @[ dropout.py:14:27 ] ] ] ] ]
	v_mul_lo_u32 v3, v16, s11
	.loc	2 35 28                         ; random.py:35:28 @[ random.py:69:57 @[ random.py:110:54 @[ random.py:84:43 @[ random.py:155:35 @[ dropout.py:14:27 ] ] ] ] ]
	v_mul_hi_u32 v2, v2, s11
	.loc	2 35 40 is_stmt 0               ; random.py:35:40 @[ random.py:69:57 @[ random.py:110:54 @[ random.py:84:43 @[ random.py:155:35 @[ dropout.py:14:27 ] ] ] ] ]
	v_xor_b32_e32 v2, v3, v2
	v_xor_b32_e32 v2, s8, v2
.Ltmp20:
	.loc	2 142 32 is_stmt 1              ; random.py:142:32 @[ random.py:156:33 @[ dropout.py:14:27 ] ]
	v_ashrrev_i32_e32 v3, 31, v2
	v_xor_b32_e32 v2, v3, v2
.Ltmp21:
	.loc	1 16 35                         ; dropout.py:16:35
	v_div_scale_f32 v3, s[10:11], v5, v5, v15
	v_rcp_f32_e32 v16, v3
.Ltmp22:
	.loc	2 143 15                        ; random.py:143:15 @[ random.py:156:33 @[ dropout.py:14:27 ] ]
	v_cvt_f32_i32_e32 v2, v2
.Ltmp23:
	.loc	1 16 35                         ; dropout.py:16:35
	v_fma_f32 v17, -v3, v16, 1.0
	v_fmac_f32_e32 v16, v17, v16
	v_div_scale_f32 v17, vcc, v15, v5, v15
	v_mul_f32_e32 v18, v17, v16
	v_fma_f32 v19, -v3, v18, v17
	v_fmac_f32_e32 v18, v19, v16
	v_fma_f32 v3, -v3, v18, v17
.Ltmp24:
	.loc	2 143 15                        ; random.py:143:15 @[ random.py:156:33 @[ dropout.py:14:27 ] ]
	v_mul_f32_e32 v2, 0x2fffffff, v2
.Ltmp25:
	.loc	1 16 35                         ; dropout.py:16:35
	v_div_fmas_f32 v3, v3, v16, v18
	v_div_fixup_f32 v3, v3, v5, v15
	.loc	1 15 22                         ; dropout.py:15:22
	v_cmp_lt_f32_e32 vcc, s7, v2
	.loc	1 16 43                         ; dropout.py:16:43
	s_nop 1
	v_cndmask_b32_e32 v15, 0, v3, vcc
	.loc	1 17 35                         ; dropout.py:17:35
	v_add_co_u32_e32 v2, vcc, 0x1000, v0
	s_nop 1
	v_addc_co_u32_e32 v3, vcc, 0, v1, vcc
	global_store_dword v[2:3], v15, off
	s_or_b64 exec, exec, s[4:5]
	s_and_saveexec_b64 s[4:5], s[20:21]
	s_cbranch_execz .LBB0_20
.LBB0_28:
	.loc	1 0 35 is_stmt 0                ; dropout.py:0:35
	s_mov_b32 s10, 0xd2511f53
.Ltmp26:
	.loc	2 36 28 is_stmt 1               ; random.py:36:28 @[ random.py:69:57 @[ random.py:110:54 @[ random.py:84:43 @[ random.py:155:35 @[ dropout.py:14:27 ] ] ] ] ]
	v_mul_hi_u32 v2, v14, s10
	.loc	2 36 40 is_stmt 0               ; random.py:36:40 @[ random.py:69:57 @[ random.py:110:54 @[ random.py:84:43 @[ random.py:155:35 @[ dropout.py:14:27 ] ] ] ] ]
	v_xor_b32_e32 v2, s38, v2
	.loc	2 38 23 is_stmt 1               ; random.py:38:23 @[ random.py:69:57 @[ random.py:110:54 @[ random.py:84:43 @[ random.py:155:35 @[ dropout.py:14:27 ] ] ] ] ]
	v_mul_lo_u32 v3, v14, s10
	s_mov_b32 s11, 0xcd9e8d57
	.loc	2 36 40                         ; random.py:36:40 @[ random.py:69:57 @[ random.py:110:54 @[ random.py:84:43 @[ random.py:155:35 @[ dropout.py:14:27 ] ] ] ] ]
	s_xor_b32 s12, s36, s37
	.loc	2 35 28                         ; random.py:35:28 @[ random.py:69:57 @[ random.py:110:54 @[ random.py:84:43 @[ random.py:155:35 @[ dropout.py:14:27 ] ] ] ] ]
	v_mul_hi_u32 v14, v2, s11
	.loc	2 36 40                         ; random.py:36:40 @[ random.py:69:57 @[ random.py:110:54 @[ random.py:84:43 @[ random.py:155:35 @[ dropout.py:14:27 ] ] ] ] ]
	v_xor_b32_e32 v3, s12, v3
	.loc	2 35 40                         ; random.py:35:40 @[ random.py:69:57 @[ random.py:110:54 @[ random.py:84:43 @[ random.py:155:35 @[ dropout.py:14:27 ] ] ] ] ]
	v_xor_b32_e32 v14, s35, v14
	.loc	2 37 23                         ; random.py:37:23 @[ random.py:69:57 @[ random.py:110:54 @[ random.py:84:43 @[ random.py:155:35 @[ dropout.py:14:27 ] ] ] ] ]
	v_mul_lo_u32 v2, v2, s11
	.loc	2 35 28                         ; random.py:35:28 @[ random.py:69:57 @[ random.py:110:54 @[ random.py:84:43 @[ random.py:155:35 @[ dropout.py:14:27 ] ] ] ] ]
	s_waitcnt vmcnt(0)
	v_mul_hi_u32 v15, v3, s11
	.loc	2 35 40 is_stmt 0               ; random.py:35:40 @[ random.py:69:57 @[ random.py:110:54 @[ random.py:84:43 @[ random.py:155:35 @[ dropout.py:14:27 ] ] ] ] ]
	v_xor_b32_e32 v2, v2, v15
	.loc	2 36 28 is_stmt 1               ; random.py:36:28 @[ random.py:69:57 @[ random.py:110:54 @[ random.py:84:43 @[ random.py:155:35 @[ dropout.py:14:27 ] ] ] ] ]
	v_mul_hi_u32 v15, v14, s10
	.loc	2 36 40 is_stmt 0               ; random.py:36:40 @[ random.py:69:57 @[ random.py:110:54 @[ random.py:84:43 @[ random.py:155:35 @[ dropout.py:14:27 ] ] ] ] ]
	s_xor_b32 s12, s33, s31
	v_xor_b32_e32 v15, s12, v15
	.loc	2 35 40 is_stmt 1               ; random.py:35:40 @[ random.py:69:57 @[ random.py:110:54 @[ random.py:84:43 @[ random.py:155:35 @[ dropout.py:14:27 ] ] ] ] ]
	v_xor_b32_e32 v2, s34, v2
	.loc	2 37 23                         ; random.py:37:23 @[ random.py:69:57 @[ random.py:110:54 @[ random.py:84:43 @[ random.py:155:35 @[ dropout.py:14:27 ] ] ] ] ]
	v_mul_lo_u32 v3, v3, s11
	.loc	2 35 28                         ; random.py:35:28 @[ random.py:69:57 @[ random.py:110:54 @[ random.py:84:43 @[ random.py:155:35 @[ dropout.py:14:27 ] ] ] ] ]
	v_mul_hi_u32 v16, v15, s11
	.loc	2 38 23                         ; random.py:38:23 @[ random.py:69:57 @[ random.py:110:54 @[ random.py:84:43 @[ random.py:155:35 @[ dropout.py:14:27 ] ] ] ] ]
	v_mul_lo_u32 v14, v14, s10
	.loc	2 35 40                         ; random.py:35:40 @[ random.py:69:57 @[ random.py:110:54 @[ random.py:84:43 @[ random.py:155:35 @[ dropout.py:14:27 ] ] ] ] ]
	v_xor_b32_e32 v3, v3, v16
	.loc	2 36 28                         ; random.py:36:28 @[ random.py:69:57 @[ random.py:110:54 @[ random.py:84:43 @[ random.py:155:35 @[ dropout.py:14:27 ] ] ] ] ]
	v_mul_hi_u32 v16, v2, s10
	.loc	2 36 40 is_stmt 0               ; random.py:36:40 @[ random.py:69:57 @[ random.py:110:54 @[ random.py:84:43 @[ random.py:155:35 @[ dropout.py:14:27 ] ] ] ] ]
	v_xor_b32_e32 v14, v14, v16
	v_xor_b32_e32 v14, s29, v14
	.loc	2 35 40 is_stmt 1               ; random.py:35:40 @[ random.py:69:57 @[ random.py:110:54 @[ random.py:84:43 @[ random.py:155:35 @[ dropout.py:14:27 ] ] ] ] ]
	v_xor_b32_e32 v3, s30, v3
	.loc	2 37 23                         ; random.py:37:23 @[ random.py:69:57 @[ random.py:110:54 @[ random.py:84:43 @[ random.py:155:35 @[ dropout.py:14:27 ] ] ] ] ]
	v_mul_lo_u32 v15, v15, s11
	.loc	2 35 28                         ; random.py:35:28 @[ random.py:69:57 @[ random.py:110:54 @[ random.py:84:43 @[ random.py:155:35 @[ dropout.py:14:27 ] ] ] ] ]
	v_mul_hi_u32 v16, v14, s11
	.loc	2 38 23                         ; random.py:38:23 @[ random.py:69:57 @[ random.py:110:54 @[ random.py:84:43 @[ random.py:155:35 @[ dropout.py:14:27 ] ] ] ] ]
	v_mul_lo_u32 v2, v2, s10
	.loc	2 35 40                         ; random.py:35:40 @[ random.py:69:57 @[ random.py:110:54 @[ random.py:84:43 @[ random.py:155:35 @[ dropout.py:14:27 ] ] ] ] ]
	v_xor_b32_e32 v15, v15, v16
	.loc	2 36 28                         ; random.py:36:28 @[ random.py:69:57 @[ random.py:110:54 @[ random.py:84:43 @[ random.py:155:35 @[ dropout.py:14:27 ] ] ] ] ]
	v_mul_hi_u32 v16, v3, s10
	.loc	2 36 40 is_stmt 0               ; random.py:36:40 @[ random.py:69:57 @[ random.py:110:54 @[ random.py:84:43 @[ random.py:155:35 @[ dropout.py:14:27 ] ] ] ] ]
	v_xor_b32_e32 v2, v2, v16
	;; [unrolled: 15-line block ×4, first 2 shown]
	v_xor_b32_e32 v15, s23, v15
	.loc	2 37 23 is_stmt 1               ; random.py:37:23 @[ random.py:69:57 @[ random.py:110:54 @[ random.py:84:43 @[ random.py:155:35 @[ dropout.py:14:27 ] ] ] ] ]
	v_mul_lo_u32 v3, v3, s11
	.loc	2 35 28                         ; random.py:35:28 @[ random.py:69:57 @[ random.py:110:54 @[ random.py:84:43 @[ random.py:155:35 @[ dropout.py:14:27 ] ] ] ] ]
	v_mul_hi_u32 v15, v15, s11
	.loc	2 35 40 is_stmt 0               ; random.py:35:40 @[ random.py:69:57 @[ random.py:110:54 @[ random.py:84:43 @[ random.py:155:35 @[ dropout.py:14:27 ] ] ] ] ]
	v_xor_b32_e32 v3, v3, v15
	v_xor_b32_e32 v2, s24, v2
	;; [unrolled: 1-line block ×3, first 2 shown]
	.loc	2 38 23 is_stmt 1               ; random.py:38:23 @[ random.py:69:57 @[ random.py:110:54 @[ random.py:84:43 @[ random.py:155:35 @[ dropout.py:14:27 ] ] ] ] ]
	v_mul_lo_u32 v14, v14, s10
	.loc	2 36 28                         ; random.py:36:28 @[ random.py:69:57 @[ random.py:110:54 @[ random.py:84:43 @[ random.py:155:35 @[ dropout.py:14:27 ] ] ] ] ]
	v_mul_hi_u32 v15, v2, s10
	.loc	2 38 23                         ; random.py:38:23 @[ random.py:69:57 @[ random.py:110:54 @[ random.py:84:43 @[ random.py:155:35 @[ dropout.py:14:27 ] ] ] ] ]
	v_mul_lo_u32 v2, v2, s10
	.loc	2 36 28                         ; random.py:36:28 @[ random.py:69:57 @[ random.py:110:54 @[ random.py:84:43 @[ random.py:155:35 @[ dropout.py:14:27 ] ] ] ] ]
	v_mul_hi_u32 v3, v3, s10
	.loc	2 36 40 is_stmt 0               ; random.py:36:40 @[ random.py:69:57 @[ random.py:110:54 @[ random.py:84:43 @[ random.py:155:35 @[ dropout.py:14:27 ] ] ] ] ]
	v_xor_b32_e32 v14, v14, v15
	v_xor_b32_e32 v2, v2, v3
	;; [unrolled: 1-line block ×4, first 2 shown]
	.loc	2 37 23 is_stmt 1               ; random.py:37:23 @[ random.py:69:57 @[ random.py:110:54 @[ random.py:84:43 @[ random.py:155:35 @[ dropout.py:14:27 ] ] ] ] ]
	v_mul_lo_u32 v3, v14, s11
	.loc	2 35 28                         ; random.py:35:28 @[ random.py:69:57 @[ random.py:110:54 @[ random.py:84:43 @[ random.py:155:35 @[ dropout.py:14:27 ] ] ] ] ]
	v_mul_hi_u32 v2, v2, s11
	.loc	2 35 40 is_stmt 0               ; random.py:35:40 @[ random.py:69:57 @[ random.py:110:54 @[ random.py:84:43 @[ random.py:155:35 @[ dropout.py:14:27 ] ] ] ] ]
	v_xor_b32_e32 v2, v3, v2
	v_xor_b32_e32 v2, s8, v2
.Ltmp27:
	.loc	2 142 32 is_stmt 1              ; random.py:142:32 @[ random.py:156:33 @[ dropout.py:14:27 ] ]
	v_ashrrev_i32_e32 v3, 31, v2
	v_xor_b32_e32 v2, v3, v2
.Ltmp28:
	.loc	1 16 35                         ; dropout.py:16:35
	v_div_scale_f32 v3, s[10:11], v5, v5, v12
	v_rcp_f32_e32 v14, v3
.Ltmp29:
	.loc	2 143 15                        ; random.py:143:15 @[ random.py:156:33 @[ dropout.py:14:27 ] ]
	v_cvt_f32_i32_e32 v2, v2
.Ltmp30:
	.loc	1 16 35                         ; dropout.py:16:35
	v_fma_f32 v15, -v3, v14, 1.0
	v_fmac_f32_e32 v14, v15, v14
	v_div_scale_f32 v15, vcc, v12, v5, v12
	v_mul_f32_e32 v16, v15, v14
	v_fma_f32 v17, -v3, v16, v15
	v_fmac_f32_e32 v16, v17, v14
	v_fma_f32 v3, -v3, v16, v15
.Ltmp31:
	.loc	2 143 15                        ; random.py:143:15 @[ random.py:156:33 @[ dropout.py:14:27 ] ]
	v_mul_f32_e32 v2, 0x2fffffff, v2
.Ltmp32:
	.loc	1 16 35                         ; dropout.py:16:35
	v_div_fmas_f32 v3, v3, v14, v16
	v_div_fixup_f32 v3, v3, v5, v12
	.loc	1 15 22                         ; dropout.py:15:22
	v_cmp_lt_f32_e32 vcc, s7, v2
	.loc	1 16 43                         ; dropout.py:16:43
	s_nop 1
	v_cndmask_b32_e32 v12, 0, v3, vcc
	.loc	1 17 35                         ; dropout.py:17:35
	v_add_co_u32_e32 v2, vcc, 0x1000, v0
	s_nop 1
	v_addc_co_u32_e32 v3, vcc, 0, v1, vcc
	global_store_dword v[2:3], v12, off offset:2048
	s_or_b64 exec, exec, s[4:5]
	s_and_saveexec_b64 s[4:5], s[18:19]
	s_cbranch_execz .LBB0_21
.LBB0_29:
	.loc	1 0 35 is_stmt 0                ; dropout.py:0:35
	s_mov_b32 s10, 0xd2511f53
.Ltmp33:
	.loc	2 36 28 is_stmt 1               ; random.py:36:28 @[ random.py:69:57 @[ random.py:110:54 @[ random.py:84:43 @[ random.py:155:35 @[ dropout.py:14:27 ] ] ] ] ]
	v_mul_hi_u32 v2, v13, s10
	.loc	2 36 40 is_stmt 0               ; random.py:36:40 @[ random.py:69:57 @[ random.py:110:54 @[ random.py:84:43 @[ random.py:155:35 @[ dropout.py:14:27 ] ] ] ] ]
	v_xor_b32_e32 v2, s38, v2
	.loc	2 38 23 is_stmt 1               ; random.py:38:23 @[ random.py:69:57 @[ random.py:110:54 @[ random.py:84:43 @[ random.py:155:35 @[ dropout.py:14:27 ] ] ] ] ]
	v_mul_lo_u32 v3, v13, s10
	s_mov_b32 s11, 0xcd9e8d57
	.loc	2 36 40                         ; random.py:36:40 @[ random.py:69:57 @[ random.py:110:54 @[ random.py:84:43 @[ random.py:155:35 @[ dropout.py:14:27 ] ] ] ] ]
	s_xor_b32 s12, s36, s37
	.loc	2 35 28                         ; random.py:35:28 @[ random.py:69:57 @[ random.py:110:54 @[ random.py:84:43 @[ random.py:155:35 @[ dropout.py:14:27 ] ] ] ] ]
	s_waitcnt vmcnt(0)
	v_mul_hi_u32 v12, v2, s11
	.loc	2 36 40                         ; random.py:36:40 @[ random.py:69:57 @[ random.py:110:54 @[ random.py:84:43 @[ random.py:155:35 @[ dropout.py:14:27 ] ] ] ] ]
	v_xor_b32_e32 v3, s12, v3
	.loc	2 35 40                         ; random.py:35:40 @[ random.py:69:57 @[ random.py:110:54 @[ random.py:84:43 @[ random.py:155:35 @[ dropout.py:14:27 ] ] ] ] ]
	v_xor_b32_e32 v12, s35, v12
	.loc	2 37 23                         ; random.py:37:23 @[ random.py:69:57 @[ random.py:110:54 @[ random.py:84:43 @[ random.py:155:35 @[ dropout.py:14:27 ] ] ] ] ]
	v_mul_lo_u32 v2, v2, s11
	.loc	2 35 28                         ; random.py:35:28 @[ random.py:69:57 @[ random.py:110:54 @[ random.py:84:43 @[ random.py:155:35 @[ dropout.py:14:27 ] ] ] ] ]
	v_mul_hi_u32 v13, v3, s11
	.loc	2 35 40 is_stmt 0               ; random.py:35:40 @[ random.py:69:57 @[ random.py:110:54 @[ random.py:84:43 @[ random.py:155:35 @[ dropout.py:14:27 ] ] ] ] ]
	v_xor_b32_e32 v2, v2, v13
	.loc	2 36 28 is_stmt 1               ; random.py:36:28 @[ random.py:69:57 @[ random.py:110:54 @[ random.py:84:43 @[ random.py:155:35 @[ dropout.py:14:27 ] ] ] ] ]
	v_mul_hi_u32 v13, v12, s10
	.loc	2 36 40 is_stmt 0               ; random.py:36:40 @[ random.py:69:57 @[ random.py:110:54 @[ random.py:84:43 @[ random.py:155:35 @[ dropout.py:14:27 ] ] ] ] ]
	s_xor_b32 s12, s33, s31
	v_xor_b32_e32 v13, s12, v13
	.loc	2 35 40 is_stmt 1               ; random.py:35:40 @[ random.py:69:57 @[ random.py:110:54 @[ random.py:84:43 @[ random.py:155:35 @[ dropout.py:14:27 ] ] ] ] ]
	v_xor_b32_e32 v2, s34, v2
	.loc	2 37 23                         ; random.py:37:23 @[ random.py:69:57 @[ random.py:110:54 @[ random.py:84:43 @[ random.py:155:35 @[ dropout.py:14:27 ] ] ] ] ]
	v_mul_lo_u32 v3, v3, s11
	.loc	2 35 28                         ; random.py:35:28 @[ random.py:69:57 @[ random.py:110:54 @[ random.py:84:43 @[ random.py:155:35 @[ dropout.py:14:27 ] ] ] ] ]
	v_mul_hi_u32 v14, v13, s11
	.loc	2 38 23                         ; random.py:38:23 @[ random.py:69:57 @[ random.py:110:54 @[ random.py:84:43 @[ random.py:155:35 @[ dropout.py:14:27 ] ] ] ] ]
	v_mul_lo_u32 v12, v12, s10
	.loc	2 35 40                         ; random.py:35:40 @[ random.py:69:57 @[ random.py:110:54 @[ random.py:84:43 @[ random.py:155:35 @[ dropout.py:14:27 ] ] ] ] ]
	v_xor_b32_e32 v3, v3, v14
	.loc	2 36 28                         ; random.py:36:28 @[ random.py:69:57 @[ random.py:110:54 @[ random.py:84:43 @[ random.py:155:35 @[ dropout.py:14:27 ] ] ] ] ]
	v_mul_hi_u32 v14, v2, s10
	.loc	2 36 40 is_stmt 0               ; random.py:36:40 @[ random.py:69:57 @[ random.py:110:54 @[ random.py:84:43 @[ random.py:155:35 @[ dropout.py:14:27 ] ] ] ] ]
	v_xor_b32_e32 v12, v12, v14
	v_xor_b32_e32 v12, s29, v12
	.loc	2 35 40 is_stmt 1               ; random.py:35:40 @[ random.py:69:57 @[ random.py:110:54 @[ random.py:84:43 @[ random.py:155:35 @[ dropout.py:14:27 ] ] ] ] ]
	v_xor_b32_e32 v3, s30, v3
	.loc	2 37 23                         ; random.py:37:23 @[ random.py:69:57 @[ random.py:110:54 @[ random.py:84:43 @[ random.py:155:35 @[ dropout.py:14:27 ] ] ] ] ]
	v_mul_lo_u32 v13, v13, s11
	.loc	2 35 28                         ; random.py:35:28 @[ random.py:69:57 @[ random.py:110:54 @[ random.py:84:43 @[ random.py:155:35 @[ dropout.py:14:27 ] ] ] ] ]
	v_mul_hi_u32 v14, v12, s11
	.loc	2 38 23                         ; random.py:38:23 @[ random.py:69:57 @[ random.py:110:54 @[ random.py:84:43 @[ random.py:155:35 @[ dropout.py:14:27 ] ] ] ] ]
	v_mul_lo_u32 v2, v2, s10
	.loc	2 35 40                         ; random.py:35:40 @[ random.py:69:57 @[ random.py:110:54 @[ random.py:84:43 @[ random.py:155:35 @[ dropout.py:14:27 ] ] ] ] ]
	v_xor_b32_e32 v13, v13, v14
	.loc	2 36 28                         ; random.py:36:28 @[ random.py:69:57 @[ random.py:110:54 @[ random.py:84:43 @[ random.py:155:35 @[ dropout.py:14:27 ] ] ] ] ]
	v_mul_hi_u32 v14, v3, s10
	.loc	2 36 40 is_stmt 0               ; random.py:36:40 @[ random.py:69:57 @[ random.py:110:54 @[ random.py:84:43 @[ random.py:155:35 @[ dropout.py:14:27 ] ] ] ] ]
	v_xor_b32_e32 v2, v2, v14
	;; [unrolled: 15-line block ×4, first 2 shown]
	v_xor_b32_e32 v13, s23, v13
	.loc	2 37 23 is_stmt 1               ; random.py:37:23 @[ random.py:69:57 @[ random.py:110:54 @[ random.py:84:43 @[ random.py:155:35 @[ dropout.py:14:27 ] ] ] ] ]
	v_mul_lo_u32 v3, v3, s11
	.loc	2 35 28                         ; random.py:35:28 @[ random.py:69:57 @[ random.py:110:54 @[ random.py:84:43 @[ random.py:155:35 @[ dropout.py:14:27 ] ] ] ] ]
	v_mul_hi_u32 v13, v13, s11
	.loc	2 35 40 is_stmt 0               ; random.py:35:40 @[ random.py:69:57 @[ random.py:110:54 @[ random.py:84:43 @[ random.py:155:35 @[ dropout.py:14:27 ] ] ] ] ]
	v_xor_b32_e32 v3, v3, v13
	v_xor_b32_e32 v2, s24, v2
	;; [unrolled: 1-line block ×3, first 2 shown]
	.loc	2 38 23 is_stmt 1               ; random.py:38:23 @[ random.py:69:57 @[ random.py:110:54 @[ random.py:84:43 @[ random.py:155:35 @[ dropout.py:14:27 ] ] ] ] ]
	v_mul_lo_u32 v12, v12, s10
	.loc	2 36 28                         ; random.py:36:28 @[ random.py:69:57 @[ random.py:110:54 @[ random.py:84:43 @[ random.py:155:35 @[ dropout.py:14:27 ] ] ] ] ]
	v_mul_hi_u32 v13, v2, s10
	.loc	2 38 23                         ; random.py:38:23 @[ random.py:69:57 @[ random.py:110:54 @[ random.py:84:43 @[ random.py:155:35 @[ dropout.py:14:27 ] ] ] ] ]
	v_mul_lo_u32 v2, v2, s10
	.loc	2 36 28                         ; random.py:36:28 @[ random.py:69:57 @[ random.py:110:54 @[ random.py:84:43 @[ random.py:155:35 @[ dropout.py:14:27 ] ] ] ] ]
	v_mul_hi_u32 v3, v3, s10
	.loc	2 36 40 is_stmt 0               ; random.py:36:40 @[ random.py:69:57 @[ random.py:110:54 @[ random.py:84:43 @[ random.py:155:35 @[ dropout.py:14:27 ] ] ] ] ]
	v_xor_b32_e32 v12, v12, v13
	v_xor_b32_e32 v2, v2, v3
	;; [unrolled: 1-line block ×4, first 2 shown]
	.loc	2 37 23 is_stmt 1               ; random.py:37:23 @[ random.py:69:57 @[ random.py:110:54 @[ random.py:84:43 @[ random.py:155:35 @[ dropout.py:14:27 ] ] ] ] ]
	v_mul_lo_u32 v3, v12, s11
	.loc	2 35 28                         ; random.py:35:28 @[ random.py:69:57 @[ random.py:110:54 @[ random.py:84:43 @[ random.py:155:35 @[ dropout.py:14:27 ] ] ] ] ]
	v_mul_hi_u32 v2, v2, s11
	.loc	2 35 40 is_stmt 0               ; random.py:35:40 @[ random.py:69:57 @[ random.py:110:54 @[ random.py:84:43 @[ random.py:155:35 @[ dropout.py:14:27 ] ] ] ] ]
	v_xor_b32_e32 v2, v3, v2
	v_xor_b32_e32 v2, s8, v2
.Ltmp34:
	.loc	2 142 32 is_stmt 1              ; random.py:142:32 @[ random.py:156:33 @[ dropout.py:14:27 ] ]
	v_ashrrev_i32_e32 v3, 31, v2
	v_xor_b32_e32 v2, v3, v2
.Ltmp35:
	.loc	1 16 35                         ; dropout.py:16:35
	v_div_scale_f32 v3, s[10:11], v5, v5, v11
	v_rcp_f32_e32 v12, v3
.Ltmp36:
	.loc	2 143 15                        ; random.py:143:15 @[ random.py:156:33 @[ dropout.py:14:27 ] ]
	v_cvt_f32_i32_e32 v2, v2
.Ltmp37:
	.loc	1 16 35                         ; dropout.py:16:35
	v_fma_f32 v13, -v3, v12, 1.0
	v_fmac_f32_e32 v12, v13, v12
	v_div_scale_f32 v13, vcc, v11, v5, v11
	v_mul_f32_e32 v14, v13, v12
	v_fma_f32 v15, -v3, v14, v13
	v_fmac_f32_e32 v14, v15, v12
	v_fma_f32 v3, -v3, v14, v13
.Ltmp38:
	.loc	2 143 15                        ; random.py:143:15 @[ random.py:156:33 @[ dropout.py:14:27 ] ]
	v_mul_f32_e32 v2, 0x2fffffff, v2
.Ltmp39:
	.loc	1 16 35                         ; dropout.py:16:35
	v_div_fmas_f32 v3, v3, v12, v14
	v_div_fixup_f32 v3, v3, v5, v11
	.loc	1 15 22                         ; dropout.py:15:22
	v_cmp_lt_f32_e32 vcc, s7, v2
	.loc	1 16 43                         ; dropout.py:16:43
	s_nop 1
	v_cndmask_b32_e32 v11, 0, v3, vcc
	.loc	1 17 35                         ; dropout.py:17:35
	v_add_co_u32_e32 v2, vcc, 0x2000, v0
	s_nop 1
	v_addc_co_u32_e32 v3, vcc, 0, v1, vcc
	global_store_dword v[2:3], v11, off
	s_or_b64 exec, exec, s[4:5]
	s_and_saveexec_b64 s[4:5], s[14:15]
	s_cbranch_execz .LBB0_22
.LBB0_30:
	.loc	1 0 35 is_stmt 0                ; dropout.py:0:35
	s_mov_b32 s10, 0xd2511f53
.Ltmp40:
	.loc	2 36 28 is_stmt 1               ; random.py:36:28 @[ random.py:69:57 @[ random.py:110:54 @[ random.py:84:43 @[ random.py:155:35 @[ dropout.py:14:27 ] ] ] ] ]
	v_mul_hi_u32 v2, v10, s10
	.loc	2 36 40 is_stmt 0               ; random.py:36:40 @[ random.py:69:57 @[ random.py:110:54 @[ random.py:84:43 @[ random.py:155:35 @[ dropout.py:14:27 ] ] ] ] ]
	v_xor_b32_e32 v2, s38, v2
	.loc	2 38 23 is_stmt 1               ; random.py:38:23 @[ random.py:69:57 @[ random.py:110:54 @[ random.py:84:43 @[ random.py:155:35 @[ dropout.py:14:27 ] ] ] ] ]
	v_mul_lo_u32 v3, v10, s10
	s_mov_b32 s11, 0xcd9e8d57
	.loc	2 36 40                         ; random.py:36:40 @[ random.py:69:57 @[ random.py:110:54 @[ random.py:84:43 @[ random.py:155:35 @[ dropout.py:14:27 ] ] ] ] ]
	s_xor_b32 s12, s36, s37
	.loc	2 35 28                         ; random.py:35:28 @[ random.py:69:57 @[ random.py:110:54 @[ random.py:84:43 @[ random.py:155:35 @[ dropout.py:14:27 ] ] ] ] ]
	v_mul_hi_u32 v10, v2, s11
	.loc	2 36 40                         ; random.py:36:40 @[ random.py:69:57 @[ random.py:110:54 @[ random.py:84:43 @[ random.py:155:35 @[ dropout.py:14:27 ] ] ] ] ]
	v_xor_b32_e32 v3, s12, v3
	.loc	2 35 40                         ; random.py:35:40 @[ random.py:69:57 @[ random.py:110:54 @[ random.py:84:43 @[ random.py:155:35 @[ dropout.py:14:27 ] ] ] ] ]
	v_xor_b32_e32 v10, s35, v10
	.loc	2 37 23                         ; random.py:37:23 @[ random.py:69:57 @[ random.py:110:54 @[ random.py:84:43 @[ random.py:155:35 @[ dropout.py:14:27 ] ] ] ] ]
	v_mul_lo_u32 v2, v2, s11
	.loc	2 35 28                         ; random.py:35:28 @[ random.py:69:57 @[ random.py:110:54 @[ random.py:84:43 @[ random.py:155:35 @[ dropout.py:14:27 ] ] ] ] ]
	s_waitcnt vmcnt(0)
	v_mul_hi_u32 v11, v3, s11
	.loc	2 35 40 is_stmt 0               ; random.py:35:40 @[ random.py:69:57 @[ random.py:110:54 @[ random.py:84:43 @[ random.py:155:35 @[ dropout.py:14:27 ] ] ] ] ]
	v_xor_b32_e32 v2, v2, v11
	.loc	2 36 28 is_stmt 1               ; random.py:36:28 @[ random.py:69:57 @[ random.py:110:54 @[ random.py:84:43 @[ random.py:155:35 @[ dropout.py:14:27 ] ] ] ] ]
	v_mul_hi_u32 v11, v10, s10
	.loc	2 36 40 is_stmt 0               ; random.py:36:40 @[ random.py:69:57 @[ random.py:110:54 @[ random.py:84:43 @[ random.py:155:35 @[ dropout.py:14:27 ] ] ] ] ]
	s_xor_b32 s12, s33, s31
	v_xor_b32_e32 v11, s12, v11
	.loc	2 35 40 is_stmt 1               ; random.py:35:40 @[ random.py:69:57 @[ random.py:110:54 @[ random.py:84:43 @[ random.py:155:35 @[ dropout.py:14:27 ] ] ] ] ]
	v_xor_b32_e32 v2, s34, v2
	.loc	2 37 23                         ; random.py:37:23 @[ random.py:69:57 @[ random.py:110:54 @[ random.py:84:43 @[ random.py:155:35 @[ dropout.py:14:27 ] ] ] ] ]
	v_mul_lo_u32 v3, v3, s11
	.loc	2 35 28                         ; random.py:35:28 @[ random.py:69:57 @[ random.py:110:54 @[ random.py:84:43 @[ random.py:155:35 @[ dropout.py:14:27 ] ] ] ] ]
	v_mul_hi_u32 v12, v11, s11
	.loc	2 38 23                         ; random.py:38:23 @[ random.py:69:57 @[ random.py:110:54 @[ random.py:84:43 @[ random.py:155:35 @[ dropout.py:14:27 ] ] ] ] ]
	v_mul_lo_u32 v10, v10, s10
	.loc	2 35 40                         ; random.py:35:40 @[ random.py:69:57 @[ random.py:110:54 @[ random.py:84:43 @[ random.py:155:35 @[ dropout.py:14:27 ] ] ] ] ]
	v_xor_b32_e32 v3, v3, v12
	.loc	2 36 28                         ; random.py:36:28 @[ random.py:69:57 @[ random.py:110:54 @[ random.py:84:43 @[ random.py:155:35 @[ dropout.py:14:27 ] ] ] ] ]
	v_mul_hi_u32 v12, v2, s10
	.loc	2 36 40 is_stmt 0               ; random.py:36:40 @[ random.py:69:57 @[ random.py:110:54 @[ random.py:84:43 @[ random.py:155:35 @[ dropout.py:14:27 ] ] ] ] ]
	v_xor_b32_e32 v10, v10, v12
	v_xor_b32_e32 v10, s29, v10
	.loc	2 35 40 is_stmt 1               ; random.py:35:40 @[ random.py:69:57 @[ random.py:110:54 @[ random.py:84:43 @[ random.py:155:35 @[ dropout.py:14:27 ] ] ] ] ]
	v_xor_b32_e32 v3, s30, v3
	.loc	2 37 23                         ; random.py:37:23 @[ random.py:69:57 @[ random.py:110:54 @[ random.py:84:43 @[ random.py:155:35 @[ dropout.py:14:27 ] ] ] ] ]
	v_mul_lo_u32 v11, v11, s11
	.loc	2 35 28                         ; random.py:35:28 @[ random.py:69:57 @[ random.py:110:54 @[ random.py:84:43 @[ random.py:155:35 @[ dropout.py:14:27 ] ] ] ] ]
	v_mul_hi_u32 v12, v10, s11
	.loc	2 38 23                         ; random.py:38:23 @[ random.py:69:57 @[ random.py:110:54 @[ random.py:84:43 @[ random.py:155:35 @[ dropout.py:14:27 ] ] ] ] ]
	v_mul_lo_u32 v2, v2, s10
	.loc	2 35 40                         ; random.py:35:40 @[ random.py:69:57 @[ random.py:110:54 @[ random.py:84:43 @[ random.py:155:35 @[ dropout.py:14:27 ] ] ] ] ]
	v_xor_b32_e32 v11, v11, v12
	.loc	2 36 28                         ; random.py:36:28 @[ random.py:69:57 @[ random.py:110:54 @[ random.py:84:43 @[ random.py:155:35 @[ dropout.py:14:27 ] ] ] ] ]
	v_mul_hi_u32 v12, v3, s10
	.loc	2 36 40 is_stmt 0               ; random.py:36:40 @[ random.py:69:57 @[ random.py:110:54 @[ random.py:84:43 @[ random.py:155:35 @[ dropout.py:14:27 ] ] ] ] ]
	v_xor_b32_e32 v2, v2, v12
	;; [unrolled: 15-line block ×4, first 2 shown]
	v_xor_b32_e32 v11, s23, v11
	.loc	2 37 23 is_stmt 1               ; random.py:37:23 @[ random.py:69:57 @[ random.py:110:54 @[ random.py:84:43 @[ random.py:155:35 @[ dropout.py:14:27 ] ] ] ] ]
	v_mul_lo_u32 v3, v3, s11
	.loc	2 35 28                         ; random.py:35:28 @[ random.py:69:57 @[ random.py:110:54 @[ random.py:84:43 @[ random.py:155:35 @[ dropout.py:14:27 ] ] ] ] ]
	v_mul_hi_u32 v11, v11, s11
	.loc	2 35 40 is_stmt 0               ; random.py:35:40 @[ random.py:69:57 @[ random.py:110:54 @[ random.py:84:43 @[ random.py:155:35 @[ dropout.py:14:27 ] ] ] ] ]
	v_xor_b32_e32 v3, v3, v11
	v_xor_b32_e32 v2, s24, v2
	;; [unrolled: 1-line block ×3, first 2 shown]
	.loc	2 38 23 is_stmt 1               ; random.py:38:23 @[ random.py:69:57 @[ random.py:110:54 @[ random.py:84:43 @[ random.py:155:35 @[ dropout.py:14:27 ] ] ] ] ]
	v_mul_lo_u32 v10, v10, s10
	.loc	2 36 28                         ; random.py:36:28 @[ random.py:69:57 @[ random.py:110:54 @[ random.py:84:43 @[ random.py:155:35 @[ dropout.py:14:27 ] ] ] ] ]
	v_mul_hi_u32 v11, v2, s10
	.loc	2 38 23                         ; random.py:38:23 @[ random.py:69:57 @[ random.py:110:54 @[ random.py:84:43 @[ random.py:155:35 @[ dropout.py:14:27 ] ] ] ] ]
	v_mul_lo_u32 v2, v2, s10
	.loc	2 36 28                         ; random.py:36:28 @[ random.py:69:57 @[ random.py:110:54 @[ random.py:84:43 @[ random.py:155:35 @[ dropout.py:14:27 ] ] ] ] ]
	v_mul_hi_u32 v3, v3, s10
	.loc	2 36 40 is_stmt 0               ; random.py:36:40 @[ random.py:69:57 @[ random.py:110:54 @[ random.py:84:43 @[ random.py:155:35 @[ dropout.py:14:27 ] ] ] ] ]
	v_xor_b32_e32 v10, v10, v11
	v_xor_b32_e32 v2, v2, v3
	;; [unrolled: 1-line block ×4, first 2 shown]
	.loc	2 37 23 is_stmt 1               ; random.py:37:23 @[ random.py:69:57 @[ random.py:110:54 @[ random.py:84:43 @[ random.py:155:35 @[ dropout.py:14:27 ] ] ] ] ]
	v_mul_lo_u32 v3, v10, s11
	.loc	2 35 28                         ; random.py:35:28 @[ random.py:69:57 @[ random.py:110:54 @[ random.py:84:43 @[ random.py:155:35 @[ dropout.py:14:27 ] ] ] ] ]
	v_mul_hi_u32 v2, v2, s11
	.loc	2 35 40 is_stmt 0               ; random.py:35:40 @[ random.py:69:57 @[ random.py:110:54 @[ random.py:84:43 @[ random.py:155:35 @[ dropout.py:14:27 ] ] ] ] ]
	v_xor_b32_e32 v2, v3, v2
	v_xor_b32_e32 v2, s8, v2
.Ltmp41:
	.loc	2 142 32 is_stmt 1              ; random.py:142:32 @[ random.py:156:33 @[ dropout.py:14:27 ] ]
	v_ashrrev_i32_e32 v3, 31, v2
	v_xor_b32_e32 v2, v3, v2
.Ltmp42:
	.loc	1 16 35                         ; dropout.py:16:35
	v_div_scale_f32 v3, s[10:11], v5, v5, v8
	v_rcp_f32_e32 v10, v3
.Ltmp43:
	.loc	2 143 15                        ; random.py:143:15 @[ random.py:156:33 @[ dropout.py:14:27 ] ]
	v_cvt_f32_i32_e32 v2, v2
.Ltmp44:
	.loc	1 16 35                         ; dropout.py:16:35
	v_fma_f32 v11, -v3, v10, 1.0
	v_fmac_f32_e32 v10, v11, v10
	v_div_scale_f32 v11, vcc, v8, v5, v8
	v_mul_f32_e32 v12, v11, v10
	v_fma_f32 v13, -v3, v12, v11
	v_fmac_f32_e32 v12, v13, v10
	v_fma_f32 v3, -v3, v12, v11
.Ltmp45:
	.loc	2 143 15                        ; random.py:143:15 @[ random.py:156:33 @[ dropout.py:14:27 ] ]
	v_mul_f32_e32 v2, 0x2fffffff, v2
.Ltmp46:
	.loc	1 16 35                         ; dropout.py:16:35
	v_div_fmas_f32 v3, v3, v10, v12
	v_div_fixup_f32 v3, v3, v5, v8
	.loc	1 15 22                         ; dropout.py:15:22
	v_cmp_lt_f32_e32 vcc, s7, v2
	.loc	1 16 43                         ; dropout.py:16:43
	s_nop 1
	v_cndmask_b32_e32 v8, 0, v3, vcc
	.loc	1 17 35                         ; dropout.py:17:35
	v_add_co_u32_e32 v2, vcc, 0x2000, v0
	s_nop 1
	v_addc_co_u32_e32 v3, vcc, 0, v1, vcc
	global_store_dword v[2:3], v8, off offset:2048
	s_or_b64 exec, exec, s[4:5]
	s_and_saveexec_b64 s[4:5], s[2:3]
	s_cbranch_execz .LBB0_23
.LBB0_31:
	.loc	1 0 35 is_stmt 0                ; dropout.py:0:35
	s_mov_b32 s2, 0xd2511f53
.Ltmp47:
	.loc	2 36 28 is_stmt 1               ; random.py:36:28 @[ random.py:69:57 @[ random.py:110:54 @[ random.py:84:43 @[ random.py:155:35 @[ dropout.py:14:27 ] ] ] ] ]
	v_mul_hi_u32 v2, v9, s2
	.loc	2 36 40 is_stmt 0               ; random.py:36:40 @[ random.py:69:57 @[ random.py:110:54 @[ random.py:84:43 @[ random.py:155:35 @[ dropout.py:14:27 ] ] ] ] ]
	v_xor_b32_e32 v2, s38, v2
	.loc	2 38 23 is_stmt 1               ; random.py:38:23 @[ random.py:69:57 @[ random.py:110:54 @[ random.py:84:43 @[ random.py:155:35 @[ dropout.py:14:27 ] ] ] ] ]
	v_mul_lo_u32 v3, v9, s2
	s_mov_b32 s3, 0xcd9e8d57
	.loc	2 36 40                         ; random.py:36:40 @[ random.py:69:57 @[ random.py:110:54 @[ random.py:84:43 @[ random.py:155:35 @[ dropout.py:14:27 ] ] ] ] ]
	s_xor_b32 s10, s36, s37
	.loc	2 35 28                         ; random.py:35:28 @[ random.py:69:57 @[ random.py:110:54 @[ random.py:84:43 @[ random.py:155:35 @[ dropout.py:14:27 ] ] ] ] ]
	s_waitcnt vmcnt(0)
	v_mul_hi_u32 v8, v2, s3
	.loc	2 36 40                         ; random.py:36:40 @[ random.py:69:57 @[ random.py:110:54 @[ random.py:84:43 @[ random.py:155:35 @[ dropout.py:14:27 ] ] ] ] ]
	v_xor_b32_e32 v3, s10, v3
	.loc	2 35 40                         ; random.py:35:40 @[ random.py:69:57 @[ random.py:110:54 @[ random.py:84:43 @[ random.py:155:35 @[ dropout.py:14:27 ] ] ] ] ]
	v_xor_b32_e32 v8, s35, v8
	.loc	2 37 23                         ; random.py:37:23 @[ random.py:69:57 @[ random.py:110:54 @[ random.py:84:43 @[ random.py:155:35 @[ dropout.py:14:27 ] ] ] ] ]
	v_mul_lo_u32 v2, v2, s3
	.loc	2 35 28                         ; random.py:35:28 @[ random.py:69:57 @[ random.py:110:54 @[ random.py:84:43 @[ random.py:155:35 @[ dropout.py:14:27 ] ] ] ] ]
	v_mul_hi_u32 v9, v3, s3
	.loc	2 35 40 is_stmt 0               ; random.py:35:40 @[ random.py:69:57 @[ random.py:110:54 @[ random.py:84:43 @[ random.py:155:35 @[ dropout.py:14:27 ] ] ] ] ]
	v_xor_b32_e32 v2, v2, v9
	.loc	2 36 28 is_stmt 1               ; random.py:36:28 @[ random.py:69:57 @[ random.py:110:54 @[ random.py:84:43 @[ random.py:155:35 @[ dropout.py:14:27 ] ] ] ] ]
	v_mul_hi_u32 v9, v8, s2
	.loc	2 36 40 is_stmt 0               ; random.py:36:40 @[ random.py:69:57 @[ random.py:110:54 @[ random.py:84:43 @[ random.py:155:35 @[ dropout.py:14:27 ] ] ] ] ]
	s_xor_b32 s10, s33, s31
	v_xor_b32_e32 v9, s10, v9
	.loc	2 35 40 is_stmt 1               ; random.py:35:40 @[ random.py:69:57 @[ random.py:110:54 @[ random.py:84:43 @[ random.py:155:35 @[ dropout.py:14:27 ] ] ] ] ]
	v_xor_b32_e32 v2, s34, v2
	.loc	2 37 23                         ; random.py:37:23 @[ random.py:69:57 @[ random.py:110:54 @[ random.py:84:43 @[ random.py:155:35 @[ dropout.py:14:27 ] ] ] ] ]
	v_mul_lo_u32 v3, v3, s3
	.loc	2 35 28                         ; random.py:35:28 @[ random.py:69:57 @[ random.py:110:54 @[ random.py:84:43 @[ random.py:155:35 @[ dropout.py:14:27 ] ] ] ] ]
	v_mul_hi_u32 v10, v9, s3
	.loc	2 38 23                         ; random.py:38:23 @[ random.py:69:57 @[ random.py:110:54 @[ random.py:84:43 @[ random.py:155:35 @[ dropout.py:14:27 ] ] ] ] ]
	v_mul_lo_u32 v8, v8, s2
	.loc	2 35 40                         ; random.py:35:40 @[ random.py:69:57 @[ random.py:110:54 @[ random.py:84:43 @[ random.py:155:35 @[ dropout.py:14:27 ] ] ] ] ]
	v_xor_b32_e32 v3, v3, v10
	.loc	2 36 28                         ; random.py:36:28 @[ random.py:69:57 @[ random.py:110:54 @[ random.py:84:43 @[ random.py:155:35 @[ dropout.py:14:27 ] ] ] ] ]
	v_mul_hi_u32 v10, v2, s2
	.loc	2 36 40 is_stmt 0               ; random.py:36:40 @[ random.py:69:57 @[ random.py:110:54 @[ random.py:84:43 @[ random.py:155:35 @[ dropout.py:14:27 ] ] ] ] ]
	v_xor_b32_e32 v8, v8, v10
	v_xor_b32_e32 v8, s29, v8
	.loc	2 35 40 is_stmt 1               ; random.py:35:40 @[ random.py:69:57 @[ random.py:110:54 @[ random.py:84:43 @[ random.py:155:35 @[ dropout.py:14:27 ] ] ] ] ]
	v_xor_b32_e32 v3, s30, v3
	.loc	2 37 23                         ; random.py:37:23 @[ random.py:69:57 @[ random.py:110:54 @[ random.py:84:43 @[ random.py:155:35 @[ dropout.py:14:27 ] ] ] ] ]
	v_mul_lo_u32 v9, v9, s3
	.loc	2 35 28                         ; random.py:35:28 @[ random.py:69:57 @[ random.py:110:54 @[ random.py:84:43 @[ random.py:155:35 @[ dropout.py:14:27 ] ] ] ] ]
	v_mul_hi_u32 v10, v8, s3
	.loc	2 38 23                         ; random.py:38:23 @[ random.py:69:57 @[ random.py:110:54 @[ random.py:84:43 @[ random.py:155:35 @[ dropout.py:14:27 ] ] ] ] ]
	v_mul_lo_u32 v2, v2, s2
	.loc	2 35 40                         ; random.py:35:40 @[ random.py:69:57 @[ random.py:110:54 @[ random.py:84:43 @[ random.py:155:35 @[ dropout.py:14:27 ] ] ] ] ]
	v_xor_b32_e32 v9, v9, v10
	.loc	2 36 28                         ; random.py:36:28 @[ random.py:69:57 @[ random.py:110:54 @[ random.py:84:43 @[ random.py:155:35 @[ dropout.py:14:27 ] ] ] ] ]
	v_mul_hi_u32 v10, v3, s2
	.loc	2 36 40 is_stmt 0               ; random.py:36:40 @[ random.py:69:57 @[ random.py:110:54 @[ random.py:84:43 @[ random.py:155:35 @[ dropout.py:14:27 ] ] ] ] ]
	v_xor_b32_e32 v2, v2, v10
	v_xor_b32_e32 v2, s27, v2
	.loc	2 35 40 is_stmt 1               ; random.py:35:40 @[ random.py:69:57 @[ random.py:110:54 @[ random.py:84:43 @[ random.py:155:35 @[ dropout.py:14:27 ] ] ] ] ]
	v_xor_b32_e32 v9, s28, v9
	.loc	2 37 23                         ; random.py:37:23 @[ random.py:69:57 @[ random.py:110:54 @[ random.py:84:43 @[ random.py:155:35 @[ dropout.py:14:27 ] ] ] ] ]
	v_mul_lo_u32 v8, v8, s3
	.loc	2 35 28                         ; random.py:35:28 @[ random.py:69:57 @[ random.py:110:54 @[ random.py:84:43 @[ random.py:155:35 @[ dropout.py:14:27 ] ] ] ] ]
	v_mul_hi_u32 v10, v2, s3
	.loc	2 38 23                         ; random.py:38:23 @[ random.py:69:57 @[ random.py:110:54 @[ random.py:84:43 @[ random.py:155:35 @[ dropout.py:14:27 ] ] ] ] ]
	v_mul_lo_u32 v3, v3, s2
	.loc	2 35 40                         ; random.py:35:40 @[ random.py:69:57 @[ random.py:110:54 @[ random.py:84:43 @[ random.py:155:35 @[ dropout.py:14:27 ] ] ] ] ]
	v_xor_b32_e32 v8, v8, v10
	.loc	2 36 28                         ; random.py:36:28 @[ random.py:69:57 @[ random.py:110:54 @[ random.py:84:43 @[ random.py:155:35 @[ dropout.py:14:27 ] ] ] ] ]
	v_mul_hi_u32 v10, v9, s2
	.loc	2 36 40 is_stmt 0               ; random.py:36:40 @[ random.py:69:57 @[ random.py:110:54 @[ random.py:84:43 @[ random.py:155:35 @[ dropout.py:14:27 ] ] ] ] ]
	v_xor_b32_e32 v3, v3, v10
	v_xor_b32_e32 v3, s25, v3
	.loc	2 35 40 is_stmt 1               ; random.py:35:40 @[ random.py:69:57 @[ random.py:110:54 @[ random.py:84:43 @[ random.py:155:35 @[ dropout.py:14:27 ] ] ] ] ]
	v_xor_b32_e32 v8, s26, v8
	.loc	2 37 23                         ; random.py:37:23 @[ random.py:69:57 @[ random.py:110:54 @[ random.py:84:43 @[ random.py:155:35 @[ dropout.py:14:27 ] ] ] ] ]
	v_mul_lo_u32 v2, v2, s3
	.loc	2 35 28                         ; random.py:35:28 @[ random.py:69:57 @[ random.py:110:54 @[ random.py:84:43 @[ random.py:155:35 @[ dropout.py:14:27 ] ] ] ] ]
	v_mul_hi_u32 v10, v3, s3
	.loc	2 38 23                         ; random.py:38:23 @[ random.py:69:57 @[ random.py:110:54 @[ random.py:84:43 @[ random.py:155:35 @[ dropout.py:14:27 ] ] ] ] ]
	v_mul_lo_u32 v9, v9, s2
	.loc	2 35 40                         ; random.py:35:40 @[ random.py:69:57 @[ random.py:110:54 @[ random.py:84:43 @[ random.py:155:35 @[ dropout.py:14:27 ] ] ] ] ]
	v_xor_b32_e32 v2, v2, v10
	.loc	2 36 28                         ; random.py:36:28 @[ random.py:69:57 @[ random.py:110:54 @[ random.py:84:43 @[ random.py:155:35 @[ dropout.py:14:27 ] ] ] ] ]
	v_mul_hi_u32 v10, v8, s2
	.loc	2 36 40 is_stmt 0               ; random.py:36:40 @[ random.py:69:57 @[ random.py:110:54 @[ random.py:84:43 @[ random.py:155:35 @[ dropout.py:14:27 ] ] ] ] ]
	v_xor_b32_e32 v9, v9, v10
	v_xor_b32_e32 v9, s23, v9
	.loc	2 37 23 is_stmt 1               ; random.py:37:23 @[ random.py:69:57 @[ random.py:110:54 @[ random.py:84:43 @[ random.py:155:35 @[ dropout.py:14:27 ] ] ] ] ]
	v_mul_lo_u32 v3, v3, s3
	.loc	2 35 28                         ; random.py:35:28 @[ random.py:69:57 @[ random.py:110:54 @[ random.py:84:43 @[ random.py:155:35 @[ dropout.py:14:27 ] ] ] ] ]
	v_mul_hi_u32 v9, v9, s3
	.loc	2 35 40 is_stmt 0               ; random.py:35:40 @[ random.py:69:57 @[ random.py:110:54 @[ random.py:84:43 @[ random.py:155:35 @[ dropout.py:14:27 ] ] ] ] ]
	v_xor_b32_e32 v3, v3, v9
	v_xor_b32_e32 v2, s24, v2
	;; [unrolled: 1-line block ×3, first 2 shown]
	.loc	2 38 23 is_stmt 1               ; random.py:38:23 @[ random.py:69:57 @[ random.py:110:54 @[ random.py:84:43 @[ random.py:155:35 @[ dropout.py:14:27 ] ] ] ] ]
	v_mul_lo_u32 v8, v8, s2
	.loc	2 36 28                         ; random.py:36:28 @[ random.py:69:57 @[ random.py:110:54 @[ random.py:84:43 @[ random.py:155:35 @[ dropout.py:14:27 ] ] ] ] ]
	v_mul_hi_u32 v9, v2, s2
	.loc	2 38 23                         ; random.py:38:23 @[ random.py:69:57 @[ random.py:110:54 @[ random.py:84:43 @[ random.py:155:35 @[ dropout.py:14:27 ] ] ] ] ]
	v_mul_lo_u32 v2, v2, s2
	.loc	2 36 28                         ; random.py:36:28 @[ random.py:69:57 @[ random.py:110:54 @[ random.py:84:43 @[ random.py:155:35 @[ dropout.py:14:27 ] ] ] ] ]
	v_mul_hi_u32 v3, v3, s2
	.loc	2 36 40 is_stmt 0               ; random.py:36:40 @[ random.py:69:57 @[ random.py:110:54 @[ random.py:84:43 @[ random.py:155:35 @[ dropout.py:14:27 ] ] ] ] ]
	v_xor_b32_e32 v8, v8, v9
	v_xor_b32_e32 v2, v2, v3
	;; [unrolled: 1-line block ×4, first 2 shown]
	.loc	2 37 23 is_stmt 1               ; random.py:37:23 @[ random.py:69:57 @[ random.py:110:54 @[ random.py:84:43 @[ random.py:155:35 @[ dropout.py:14:27 ] ] ] ] ]
	v_mul_lo_u32 v3, v8, s3
	.loc	2 35 28                         ; random.py:35:28 @[ random.py:69:57 @[ random.py:110:54 @[ random.py:84:43 @[ random.py:155:35 @[ dropout.py:14:27 ] ] ] ] ]
	v_mul_hi_u32 v2, v2, s3
	.loc	2 35 40 is_stmt 0               ; random.py:35:40 @[ random.py:69:57 @[ random.py:110:54 @[ random.py:84:43 @[ random.py:155:35 @[ dropout.py:14:27 ] ] ] ] ]
	v_xor_b32_e32 v2, v3, v2
	v_xor_b32_e32 v2, s8, v2
.Ltmp48:
	.loc	2 142 32 is_stmt 1              ; random.py:142:32 @[ random.py:156:33 @[ dropout.py:14:27 ] ]
	v_ashrrev_i32_e32 v3, 31, v2
	v_xor_b32_e32 v2, v3, v2
.Ltmp49:
	.loc	1 16 35                         ; dropout.py:16:35
	v_div_scale_f32 v3, s[2:3], v5, v5, v7
	v_rcp_f32_e32 v8, v3
.Ltmp50:
	.loc	2 143 15                        ; random.py:143:15 @[ random.py:156:33 @[ dropout.py:14:27 ] ]
	v_cvt_f32_i32_e32 v2, v2
.Ltmp51:
	.loc	1 16 35                         ; dropout.py:16:35
	v_fma_f32 v9, -v3, v8, 1.0
	v_fmac_f32_e32 v8, v9, v8
	v_div_scale_f32 v9, vcc, v7, v5, v7
	v_mul_f32_e32 v10, v9, v8
	v_fma_f32 v11, -v3, v10, v9
	v_fmac_f32_e32 v10, v11, v8
	v_fma_f32 v3, -v3, v10, v9
.Ltmp52:
	.loc	2 143 15                        ; random.py:143:15 @[ random.py:156:33 @[ dropout.py:14:27 ] ]
	v_mul_f32_e32 v2, 0x2fffffff, v2
.Ltmp53:
	.loc	1 16 35                         ; dropout.py:16:35
	v_div_fmas_f32 v3, v3, v8, v10
	v_div_fixup_f32 v3, v3, v5, v7
	.loc	1 15 22                         ; dropout.py:15:22
	v_cmp_lt_f32_e32 vcc, s7, v2
	.loc	1 16 43                         ; dropout.py:16:43
	s_nop 1
	v_cndmask_b32_e32 v7, 0, v3, vcc
	.loc	1 17 35                         ; dropout.py:17:35
	v_add_co_u32_e32 v2, vcc, 0x3000, v0
	s_nop 1
	v_addc_co_u32_e32 v3, vcc, 0, v1, vcc
	global_store_dword v[2:3], v7, off
	s_or_b64 exec, exec, s[4:5]
	s_and_saveexec_b64 s[2:3], s[0:1]
	s_cbranch_execz .LBB0_24
.LBB0_32:
	.loc	1 0 35 is_stmt 0                ; dropout.py:0:35
	s_mov_b32 s0, 0xd2511f53
.Ltmp54:
	.loc	2 36 28 is_stmt 1               ; random.py:36:28 @[ random.py:69:57 @[ random.py:110:54 @[ random.py:84:43 @[ random.py:155:35 @[ dropout.py:14:27 ] ] ] ] ]
	v_mul_hi_u32 v2, v6, s0
	.loc	2 36 40 is_stmt 0               ; random.py:36:40 @[ random.py:69:57 @[ random.py:110:54 @[ random.py:84:43 @[ random.py:155:35 @[ dropout.py:14:27 ] ] ] ] ]
	v_xor_b32_e32 v2, s38, v2
	.loc	2 38 23 is_stmt 1               ; random.py:38:23 @[ random.py:69:57 @[ random.py:110:54 @[ random.py:84:43 @[ random.py:155:35 @[ dropout.py:14:27 ] ] ] ] ]
	v_mul_lo_u32 v3, v6, s0
	s_mov_b32 s1, 0xcd9e8d57
	.loc	2 36 40                         ; random.py:36:40 @[ random.py:69:57 @[ random.py:110:54 @[ random.py:84:43 @[ random.py:155:35 @[ dropout.py:14:27 ] ] ] ] ]
	s_xor_b32 s2, s36, s37
	.loc	2 35 28                         ; random.py:35:28 @[ random.py:69:57 @[ random.py:110:54 @[ random.py:84:43 @[ random.py:155:35 @[ dropout.py:14:27 ] ] ] ] ]
	v_mul_hi_u32 v6, v2, s1
	.loc	2 36 40                         ; random.py:36:40 @[ random.py:69:57 @[ random.py:110:54 @[ random.py:84:43 @[ random.py:155:35 @[ dropout.py:14:27 ] ] ] ] ]
	v_xor_b32_e32 v3, s2, v3
	.loc	2 35 40                         ; random.py:35:40 @[ random.py:69:57 @[ random.py:110:54 @[ random.py:84:43 @[ random.py:155:35 @[ dropout.py:14:27 ] ] ] ] ]
	v_xor_b32_e32 v6, s35, v6
	.loc	2 37 23                         ; random.py:37:23 @[ random.py:69:57 @[ random.py:110:54 @[ random.py:84:43 @[ random.py:155:35 @[ dropout.py:14:27 ] ] ] ] ]
	v_mul_lo_u32 v2, v2, s1
	.loc	2 35 28                         ; random.py:35:28 @[ random.py:69:57 @[ random.py:110:54 @[ random.py:84:43 @[ random.py:155:35 @[ dropout.py:14:27 ] ] ] ] ]
	s_waitcnt vmcnt(0)
	v_mul_hi_u32 v7, v3, s1
	.loc	2 35 40 is_stmt 0               ; random.py:35:40 @[ random.py:69:57 @[ random.py:110:54 @[ random.py:84:43 @[ random.py:155:35 @[ dropout.py:14:27 ] ] ] ] ]
	v_xor_b32_e32 v2, v2, v7
	.loc	2 36 28 is_stmt 1               ; random.py:36:28 @[ random.py:69:57 @[ random.py:110:54 @[ random.py:84:43 @[ random.py:155:35 @[ dropout.py:14:27 ] ] ] ] ]
	v_mul_hi_u32 v7, v6, s0
	.loc	2 36 40 is_stmt 0               ; random.py:36:40 @[ random.py:69:57 @[ random.py:110:54 @[ random.py:84:43 @[ random.py:155:35 @[ dropout.py:14:27 ] ] ] ] ]
	s_xor_b32 s2, s33, s31
	v_xor_b32_e32 v7, s2, v7
	.loc	2 35 40 is_stmt 1               ; random.py:35:40 @[ random.py:69:57 @[ random.py:110:54 @[ random.py:84:43 @[ random.py:155:35 @[ dropout.py:14:27 ] ] ] ] ]
	v_xor_b32_e32 v2, s34, v2
	.loc	2 37 23                         ; random.py:37:23 @[ random.py:69:57 @[ random.py:110:54 @[ random.py:84:43 @[ random.py:155:35 @[ dropout.py:14:27 ] ] ] ] ]
	v_mul_lo_u32 v3, v3, s1
	.loc	2 35 28                         ; random.py:35:28 @[ random.py:69:57 @[ random.py:110:54 @[ random.py:84:43 @[ random.py:155:35 @[ dropout.py:14:27 ] ] ] ] ]
	v_mul_hi_u32 v8, v7, s1
	.loc	2 38 23                         ; random.py:38:23 @[ random.py:69:57 @[ random.py:110:54 @[ random.py:84:43 @[ random.py:155:35 @[ dropout.py:14:27 ] ] ] ] ]
	v_mul_lo_u32 v6, v6, s0
	.loc	2 35 40                         ; random.py:35:40 @[ random.py:69:57 @[ random.py:110:54 @[ random.py:84:43 @[ random.py:155:35 @[ dropout.py:14:27 ] ] ] ] ]
	v_xor_b32_e32 v3, v3, v8
	.loc	2 36 28                         ; random.py:36:28 @[ random.py:69:57 @[ random.py:110:54 @[ random.py:84:43 @[ random.py:155:35 @[ dropout.py:14:27 ] ] ] ] ]
	v_mul_hi_u32 v8, v2, s0
	.loc	2 36 40 is_stmt 0               ; random.py:36:40 @[ random.py:69:57 @[ random.py:110:54 @[ random.py:84:43 @[ random.py:155:35 @[ dropout.py:14:27 ] ] ] ] ]
	v_xor_b32_e32 v6, v6, v8
	v_xor_b32_e32 v6, s29, v6
	.loc	2 35 40 is_stmt 1               ; random.py:35:40 @[ random.py:69:57 @[ random.py:110:54 @[ random.py:84:43 @[ random.py:155:35 @[ dropout.py:14:27 ] ] ] ] ]
	v_xor_b32_e32 v3, s30, v3
	.loc	2 37 23                         ; random.py:37:23 @[ random.py:69:57 @[ random.py:110:54 @[ random.py:84:43 @[ random.py:155:35 @[ dropout.py:14:27 ] ] ] ] ]
	v_mul_lo_u32 v7, v7, s1
	.loc	2 35 28                         ; random.py:35:28 @[ random.py:69:57 @[ random.py:110:54 @[ random.py:84:43 @[ random.py:155:35 @[ dropout.py:14:27 ] ] ] ] ]
	v_mul_hi_u32 v8, v6, s1
	.loc	2 38 23                         ; random.py:38:23 @[ random.py:69:57 @[ random.py:110:54 @[ random.py:84:43 @[ random.py:155:35 @[ dropout.py:14:27 ] ] ] ] ]
	v_mul_lo_u32 v2, v2, s0
	.loc	2 35 40                         ; random.py:35:40 @[ random.py:69:57 @[ random.py:110:54 @[ random.py:84:43 @[ random.py:155:35 @[ dropout.py:14:27 ] ] ] ] ]
	v_xor_b32_e32 v7, v7, v8
	.loc	2 36 28                         ; random.py:36:28 @[ random.py:69:57 @[ random.py:110:54 @[ random.py:84:43 @[ random.py:155:35 @[ dropout.py:14:27 ] ] ] ] ]
	v_mul_hi_u32 v8, v3, s0
	.loc	2 36 40 is_stmt 0               ; random.py:36:40 @[ random.py:69:57 @[ random.py:110:54 @[ random.py:84:43 @[ random.py:155:35 @[ dropout.py:14:27 ] ] ] ] ]
	v_xor_b32_e32 v2, v2, v8
	;; [unrolled: 15-line block ×4, first 2 shown]
	v_xor_b32_e32 v7, s23, v7
	.loc	2 37 23 is_stmt 1               ; random.py:37:23 @[ random.py:69:57 @[ random.py:110:54 @[ random.py:84:43 @[ random.py:155:35 @[ dropout.py:14:27 ] ] ] ] ]
	v_mul_lo_u32 v3, v3, s1
	.loc	2 35 28                         ; random.py:35:28 @[ random.py:69:57 @[ random.py:110:54 @[ random.py:84:43 @[ random.py:155:35 @[ dropout.py:14:27 ] ] ] ] ]
	v_mul_hi_u32 v7, v7, s1
	.loc	2 35 40 is_stmt 0               ; random.py:35:40 @[ random.py:69:57 @[ random.py:110:54 @[ random.py:84:43 @[ random.py:155:35 @[ dropout.py:14:27 ] ] ] ] ]
	v_xor_b32_e32 v3, v3, v7
	v_xor_b32_e32 v2, s24, v2
	;; [unrolled: 1-line block ×3, first 2 shown]
	.loc	2 38 23 is_stmt 1               ; random.py:38:23 @[ random.py:69:57 @[ random.py:110:54 @[ random.py:84:43 @[ random.py:155:35 @[ dropout.py:14:27 ] ] ] ] ]
	v_mul_lo_u32 v6, v6, s0
	.loc	2 36 28                         ; random.py:36:28 @[ random.py:69:57 @[ random.py:110:54 @[ random.py:84:43 @[ random.py:155:35 @[ dropout.py:14:27 ] ] ] ] ]
	v_mul_hi_u32 v7, v2, s0
	.loc	2 38 23                         ; random.py:38:23 @[ random.py:69:57 @[ random.py:110:54 @[ random.py:84:43 @[ random.py:155:35 @[ dropout.py:14:27 ] ] ] ] ]
	v_mul_lo_u32 v2, v2, s0
	.loc	2 36 28                         ; random.py:36:28 @[ random.py:69:57 @[ random.py:110:54 @[ random.py:84:43 @[ random.py:155:35 @[ dropout.py:14:27 ] ] ] ] ]
	v_mul_hi_u32 v3, v3, s0
	.loc	2 36 40 is_stmt 0               ; random.py:36:40 @[ random.py:69:57 @[ random.py:110:54 @[ random.py:84:43 @[ random.py:155:35 @[ dropout.py:14:27 ] ] ] ] ]
	v_xor_b32_e32 v6, v6, v7
	v_xor_b32_e32 v2, v2, v3
	;; [unrolled: 1-line block ×4, first 2 shown]
	.loc	2 37 23 is_stmt 1               ; random.py:37:23 @[ random.py:69:57 @[ random.py:110:54 @[ random.py:84:43 @[ random.py:155:35 @[ dropout.py:14:27 ] ] ] ] ]
	v_mul_lo_u32 v3, v6, s1
	.loc	2 35 28                         ; random.py:35:28 @[ random.py:69:57 @[ random.py:110:54 @[ random.py:84:43 @[ random.py:155:35 @[ dropout.py:14:27 ] ] ] ] ]
	v_mul_hi_u32 v2, v2, s1
	.loc	2 35 40 is_stmt 0               ; random.py:35:40 @[ random.py:69:57 @[ random.py:110:54 @[ random.py:84:43 @[ random.py:155:35 @[ dropout.py:14:27 ] ] ] ] ]
	v_xor_b32_e32 v2, v3, v2
	v_xor_b32_e32 v2, s8, v2
.Ltmp55:
	.loc	2 142 32 is_stmt 1              ; random.py:142:32 @[ random.py:156:33 @[ dropout.py:14:27 ] ]
	v_ashrrev_i32_e32 v3, 31, v2
	v_xor_b32_e32 v2, v3, v2
.Ltmp56:
	.loc	1 16 35                         ; dropout.py:16:35
	v_div_scale_f32 v3, s[0:1], v5, v5, v4
	v_rcp_f32_e32 v6, v3
.Ltmp57:
	.loc	2 143 15                        ; random.py:143:15 @[ random.py:156:33 @[ dropout.py:14:27 ] ]
	v_cvt_f32_i32_e32 v2, v2
.Ltmp58:
	.loc	1 16 35                         ; dropout.py:16:35
	v_fma_f32 v7, -v3, v6, 1.0
	v_fmac_f32_e32 v6, v7, v6
	v_div_scale_f32 v7, vcc, v4, v5, v4
	v_mul_f32_e32 v8, v7, v6
	v_fma_f32 v9, -v3, v8, v7
	v_fmac_f32_e32 v8, v9, v6
	v_fma_f32 v3, -v3, v8, v7
.Ltmp59:
	.loc	2 143 15                        ; random.py:143:15 @[ random.py:156:33 @[ dropout.py:14:27 ] ]
	v_mul_f32_e32 v2, 0x2fffffff, v2
.Ltmp60:
	.loc	1 16 35                         ; dropout.py:16:35
	v_div_fmas_f32 v3, v3, v6, v8
	v_div_fixup_f32 v3, v3, v5, v4
	.loc	1 15 22                         ; dropout.py:15:22
	v_cmp_lt_f32_e32 vcc, s7, v2
	.loc	1 16 43                         ; dropout.py:16:43
	s_nop 1
	v_cndmask_b32_e32 v2, 0, v3, vcc
	.loc	1 17 35                         ; dropout.py:17:35
	v_add_co_u32_e32 v0, vcc, 0x3000, v0
	s_nop 1
	v_addc_co_u32_e32 v1, vcc, 0, v1, vcc
	global_store_dword v[0:1], v2, off offset:2048
	.loc	1 17 4 is_stmt 0                ; dropout.py:17:4
	s_endpgm
.Ltmp61:
	.section	.rodata,"a",@progbits
	.p2align	6, 0x0
	.amdhsa_kernel seeded_dropout_kernel
		.amdhsa_group_segment_fixed_size 0
		.amdhsa_private_segment_fixed_size 0
		.amdhsa_kernarg_size 48
		.amdhsa_user_sgpr_count 14
		.amdhsa_user_sgpr_dispatch_ptr 0
		.amdhsa_user_sgpr_queue_ptr 0
		.amdhsa_user_sgpr_kernarg_segment_ptr 1
		.amdhsa_user_sgpr_dispatch_id 0
		.amdhsa_user_sgpr_kernarg_preload_length 12
		.amdhsa_user_sgpr_kernarg_preload_offset 0
		.amdhsa_user_sgpr_private_segment_size 0
		.amdhsa_uses_dynamic_stack 0
		.amdhsa_enable_private_segment 0
		.amdhsa_system_sgpr_workgroup_id_x 1
		.amdhsa_system_sgpr_workgroup_id_y 0
		.amdhsa_system_sgpr_workgroup_id_z 0
		.amdhsa_system_sgpr_workgroup_info 0
		.amdhsa_system_vgpr_workitem_id 0
		.amdhsa_next_free_vgpr 24
		.amdhsa_next_free_sgpr 40
		.amdhsa_accum_offset 24
		.amdhsa_reserve_vcc 1
		.amdhsa_reserve_xnack_mask 1
		.amdhsa_float_round_mode_32 0
		.amdhsa_float_round_mode_16_64 0
		.amdhsa_float_denorm_mode_32 3
		.amdhsa_float_denorm_mode_16_64 3
		.amdhsa_dx10_clamp 1
		.amdhsa_ieee_mode 1
		.amdhsa_fp16_overflow 0
		.amdhsa_tg_split 0
		.amdhsa_exception_fp_ieee_invalid_op 0
		.amdhsa_exception_fp_denorm_src 0
		.amdhsa_exception_fp_ieee_div_zero 0
		.amdhsa_exception_fp_ieee_overflow 0
		.amdhsa_exception_fp_ieee_underflow 0
		.amdhsa_exception_fp_ieee_inexact 0
		.amdhsa_exception_int_div_zero 0
	.end_amdhsa_kernel
	.text
.Lfunc_end0:
	.size	seeded_dropout_kernel, .Lfunc_end0-seeded_dropout_kernel
	.cfi_endproc
                                        ; -- End function
	.set seeded_dropout_kernel.num_vgpr, 24
	.set seeded_dropout_kernel.num_agpr, 0
	.set seeded_dropout_kernel.numbered_sgpr, 40
	.set seeded_dropout_kernel.num_named_barrier, 0
	.set seeded_dropout_kernel.private_seg_size, 0
	.set seeded_dropout_kernel.uses_vcc, 1
	.set seeded_dropout_kernel.uses_flat_scratch, 0
	.set seeded_dropout_kernel.has_dyn_sized_stack, 0
	.set seeded_dropout_kernel.has_recursion, 0
	.set seeded_dropout_kernel.has_indirect_call, 0
	.section	.AMDGPU.csdata,"",@progbits
; Kernel info:
; codeLenInByte = 5148
; TotalNumSgprs: 46
; NumVgprs: 24
; NumAgprs: 0
; TotalNumVgprs: 24
; ScratchSize: 0
; MemoryBound: 0
; FloatMode: 240
; IeeeMode: 1
; LDSByteSize: 0 bytes/workgroup (compile time only)
; SGPRBlocks: 5
; VGPRBlocks: 2
; NumSGPRsForWavesPerEU: 46
; NumVGPRsForWavesPerEU: 24
; AccumOffset: 24
; Occupancy: 8
; WaveLimiterHint : 0
; COMPUTE_PGM_RSRC2:SCRATCH_EN: 0
; COMPUTE_PGM_RSRC2:USER_SGPR: 14
; COMPUTE_PGM_RSRC2:TRAP_HANDLER: 0
; COMPUTE_PGM_RSRC2:TGID_X_EN: 1
; COMPUTE_PGM_RSRC2:TGID_Y_EN: 0
; COMPUTE_PGM_RSRC2:TGID_Z_EN: 0
; COMPUTE_PGM_RSRC2:TIDIG_COMP_CNT: 0
; COMPUTE_PGM_RSRC3_GFX90A:ACCUM_OFFSET: 5
; COMPUTE_PGM_RSRC3_GFX90A:TG_SPLIT: 0
	.text
	.p2alignl 6, 3212836864
	.fill 256, 4, 3212836864
	.section	.AMDGPU.gpr_maximums,"",@progbits
	.set amdgpu.max_num_vgpr, 0
	.set amdgpu.max_num_agpr, 0
	.set amdgpu.max_num_sgpr, 0
	.set amdgpu.max_num_named_barrier, 0
	.text
	.section	.debug_abbrev,"",@progbits
	.byte	1                               ; Abbreviation Code
	.byte	17                              ; DW_TAG_compile_unit
	.byte	1                               ; DW_CHILDREN_yes
	.byte	37                              ; DW_AT_producer
	.byte	14                              ; DW_FORM_strp
	.byte	19                              ; DW_AT_language
	.byte	5                               ; DW_FORM_data2
	.byte	3                               ; DW_AT_name
	.byte	14                              ; DW_FORM_strp
	.byte	16                              ; DW_AT_stmt_list
	.byte	23                              ; DW_FORM_sec_offset
	.byte	27                              ; DW_AT_comp_dir
	.byte	14                              ; DW_FORM_strp
	.byte	17                              ; DW_AT_low_pc
	.byte	1                               ; DW_FORM_addr
	.byte	18                              ; DW_AT_high_pc
	.byte	6                               ; DW_FORM_data4
	.byte	0                               ; EOM(1)
	.byte	0                               ; EOM(2)
	.byte	2                               ; Abbreviation Code
	.byte	46                              ; DW_TAG_subprogram
	.byte	0                               ; DW_CHILDREN_no
	.byte	3                               ; DW_AT_name
	.byte	14                              ; DW_FORM_strp
	.byte	32                              ; DW_AT_inline
	.byte	11                              ; DW_FORM_data1
	.byte	0                               ; EOM(1)
	.byte	0                               ; EOM(2)
	.byte	3                               ; Abbreviation Code
	.byte	46                              ; DW_TAG_subprogram
	.byte	1                               ; DW_CHILDREN_yes
	.byte	17                              ; DW_AT_low_pc
	.byte	1                               ; DW_FORM_addr
	.byte	18                              ; DW_AT_high_pc
	.byte	6                               ; DW_FORM_data4
	.byte	49                              ; DW_AT_abstract_origin
	.byte	19                              ; DW_FORM_ref4
	.byte	0                               ; EOM(1)
	.byte	0                               ; EOM(2)
	.byte	4                               ; Abbreviation Code
	.byte	29                              ; DW_TAG_inlined_subroutine
	.byte	1                               ; DW_CHILDREN_yes
	.byte	49                              ; DW_AT_abstract_origin
	.byte	19                              ; DW_FORM_ref4
	.byte	85                              ; DW_AT_ranges
	.byte	23                              ; DW_FORM_sec_offset
	.byte	88                              ; DW_AT_call_file
	.byte	11                              ; DW_FORM_data1
	.byte	89                              ; DW_AT_call_line
	.byte	11                              ; DW_FORM_data1
	.byte	87                              ; DW_AT_call_column
	.byte	11                              ; DW_FORM_data1
	.byte	0                               ; EOM(1)
	.byte	0                               ; EOM(2)
	.byte	5                               ; Abbreviation Code
	.byte	29                              ; DW_TAG_inlined_subroutine
	.byte	0                               ; DW_CHILDREN_no
	.byte	49                              ; DW_AT_abstract_origin
	.byte	19                              ; DW_FORM_ref4
	.byte	85                              ; DW_AT_ranges
	.byte	23                              ; DW_FORM_sec_offset
	.byte	88                              ; DW_AT_call_file
	.byte	11                              ; DW_FORM_data1
	.byte	89                              ; DW_AT_call_line
	.byte	11                              ; DW_FORM_data1
	.byte	87                              ; DW_AT_call_column
	.byte	11                              ; DW_FORM_data1
	.byte	0                               ; EOM(1)
	.byte	0                               ; EOM(2)
	;; [unrolled: 1-line block ×3, first 2 shown]
	.section	.debug_info,"",@progbits
.Lcu_begin0:
	.long	.Ldebug_info_end0-.Ldebug_info_start0 ; Length of Unit
.Ldebug_info_start0:
	.short	4                               ; DWARF version number
	.long	.debug_abbrev                   ; Offset Into Abbrev. Section
	.byte	8                               ; Address Size (in bytes)
	.byte	1                               ; Abbrev [1] 0xb:0x84 DW_TAG_compile_unit
	.long	.Linfo_string0                  ; DW_AT_producer
	.short	2                               ; DW_AT_language
	.long	.Linfo_string1                  ; DW_AT_name
	.long	.Lline_table_start0             ; DW_AT_stmt_list
	.long	.Linfo_string2                  ; DW_AT_comp_dir
	.quad	.Lfunc_begin0                   ; DW_AT_low_pc
	.long	.Lfunc_end0-.Lfunc_begin0       ; DW_AT_high_pc
	.byte	2                               ; Abbrev [2] 0x2a:0x6 DW_TAG_subprogram
	.long	.Linfo_string3                  ; DW_AT_name
	.byte	1                               ; DW_AT_inline
	.byte	3                               ; Abbrev [3] 0x30:0x5e DW_TAG_subprogram
	.quad	.Lfunc_begin0                   ; DW_AT_low_pc
	.long	.Lfunc_end0-.Lfunc_begin0       ; DW_AT_high_pc
	.long	42                              ; DW_AT_abstract_origin
	.byte	4                               ; Abbrev [4] 0x41:0x4c DW_TAG_inlined_subroutine
	.long	42                              ; DW_AT_abstract_origin
	.long	.Ldebug_ranges0                 ; DW_AT_ranges
	.byte	1                               ; DW_AT_call_file
	.byte	14                              ; DW_AT_call_line
	.byte	27                              ; DW_AT_call_column
	.byte	4                               ; Abbrev [4] 0x4d:0x33 DW_TAG_inlined_subroutine
	.long	42                              ; DW_AT_abstract_origin
	.long	.Ldebug_ranges1                 ; DW_AT_ranges
	.byte	2                               ; DW_AT_call_file
	.byte	155                             ; DW_AT_call_line
	.byte	35                              ; DW_AT_call_column
	.byte	4                               ; Abbrev [4] 0x59:0x26 DW_TAG_inlined_subroutine
	.long	42                              ; DW_AT_abstract_origin
	.long	.Ldebug_ranges1                 ; DW_AT_ranges
	.byte	2                               ; DW_AT_call_file
	.byte	84                              ; DW_AT_call_line
	.byte	43                              ; DW_AT_call_column
	.byte	4                               ; Abbrev [4] 0x65:0x19 DW_TAG_inlined_subroutine
	.long	42                              ; DW_AT_abstract_origin
	.long	.Ldebug_ranges1                 ; DW_AT_ranges
	.byte	2                               ; DW_AT_call_file
	.byte	110                             ; DW_AT_call_line
	.byte	54                              ; DW_AT_call_column
	.byte	5                               ; Abbrev [5] 0x71:0xc DW_TAG_inlined_subroutine
	.long	42                              ; DW_AT_abstract_origin
	.long	.Ldebug_ranges2                 ; DW_AT_ranges
	.byte	2                               ; DW_AT_call_file
	.byte	69                              ; DW_AT_call_line
	.byte	57                              ; DW_AT_call_column
	.byte	0                               ; End Of Children Mark
	.byte	0                               ; End Of Children Mark
	;; [unrolled: 1-line block ×3, first 2 shown]
	.byte	5                               ; Abbrev [5] 0x80:0xc DW_TAG_inlined_subroutine
	.long	42                              ; DW_AT_abstract_origin
	.long	.Ldebug_ranges3                 ; DW_AT_ranges
	.byte	2                               ; DW_AT_call_file
	.byte	156                             ; DW_AT_call_line
	.byte	33                              ; DW_AT_call_column
	.byte	0                               ; End Of Children Mark
	.byte	0                               ; End Of Children Mark
	;; [unrolled: 1-line block ×3, first 2 shown]
.Ldebug_info_end0:
	.section	.debug_ranges,"",@progbits
.Ldebug_ranges0:
	.quad	.Ltmp2-.Lfunc_begin0
	.quad	.Ltmp4-.Lfunc_begin0
	;; [unrolled: 1-line block ×50, first 2 shown]
	.quad	0
	.quad	0
.Ldebug_ranges1:
	.quad	.Ltmp2-.Lfunc_begin0
	.quad	.Ltmp4-.Lfunc_begin0
	;; [unrolled: 1-line block ×18, first 2 shown]
	.quad	0
	.quad	0
.Ldebug_ranges2:
	.quad	.Ltmp3-.Lfunc_begin0
	.quad	.Ltmp4-.Lfunc_begin0
	;; [unrolled: 1-line block ×18, first 2 shown]
	.quad	0
	.quad	0
.Ldebug_ranges3:
	.quad	.Ltmp6-.Lfunc_begin0
	.quad	.Ltmp7-.Lfunc_begin0
	.quad	.Ltmp8-.Lfunc_begin0
	.quad	.Ltmp9-.Lfunc_begin0
	.quad	.Ltmp10-.Lfunc_begin0
	.quad	.Ltmp11-.Lfunc_begin0
	.quad	.Ltmp13-.Lfunc_begin0
	.quad	.Ltmp14-.Lfunc_begin0
	.quad	.Ltmp15-.Lfunc_begin0
	.quad	.Ltmp16-.Lfunc_begin0
	.quad	.Ltmp17-.Lfunc_begin0
	.quad	.Ltmp18-.Lfunc_begin0
	.quad	.Ltmp20-.Lfunc_begin0
	.quad	.Ltmp21-.Lfunc_begin0
	.quad	.Ltmp22-.Lfunc_begin0
	.quad	.Ltmp23-.Lfunc_begin0
	.quad	.Ltmp24-.Lfunc_begin0
	.quad	.Ltmp25-.Lfunc_begin0
	.quad	.Ltmp27-.Lfunc_begin0
	.quad	.Ltmp28-.Lfunc_begin0
	.quad	.Ltmp29-.Lfunc_begin0
	.quad	.Ltmp30-.Lfunc_begin0
	.quad	.Ltmp31-.Lfunc_begin0
	.quad	.Ltmp32-.Lfunc_begin0
	.quad	.Ltmp34-.Lfunc_begin0
	.quad	.Ltmp35-.Lfunc_begin0
	.quad	.Ltmp36-.Lfunc_begin0
	.quad	.Ltmp37-.Lfunc_begin0
	.quad	.Ltmp38-.Lfunc_begin0
	.quad	.Ltmp39-.Lfunc_begin0
	.quad	.Ltmp41-.Lfunc_begin0
	.quad	.Ltmp42-.Lfunc_begin0
	.quad	.Ltmp43-.Lfunc_begin0
	.quad	.Ltmp44-.Lfunc_begin0
	.quad	.Ltmp45-.Lfunc_begin0
	.quad	.Ltmp46-.Lfunc_begin0
	.quad	.Ltmp48-.Lfunc_begin0
	.quad	.Ltmp49-.Lfunc_begin0
	.quad	.Ltmp50-.Lfunc_begin0
	.quad	.Ltmp51-.Lfunc_begin0
	.quad	.Ltmp52-.Lfunc_begin0
	.quad	.Ltmp53-.Lfunc_begin0
	.quad	.Ltmp55-.Lfunc_begin0
	.quad	.Ltmp56-.Lfunc_begin0
	.quad	.Ltmp57-.Lfunc_begin0
	.quad	.Ltmp58-.Lfunc_begin0
	.quad	.Ltmp59-.Lfunc_begin0
	.quad	.Ltmp60-.Lfunc_begin0
	.quad	0
	.quad	0
	.section	.debug_str,"MS",@progbits,1
.Linfo_string0:
	.asciz	"triton"                        ; string offset=0
.Linfo_string1:
	.asciz	"dropout.py"                    ; string offset=7
.Linfo_string2:
	.asciz	"/root/src/amdgpu-assembly/repos/triton-lang__triton-aot" ; string offset=18
.Linfo_string3:
	.asciz	"seeded_dropout_kernel"         ; string offset=74
	.section	".note.GNU-stack","",@progbits
	.amdgpu_metadata
---
amdhsa.kernels:
  - .agpr_count:     0
    .args:
      - .address_space:  global
        .offset:         0
        .size:           8
        .value_kind:     global_buffer
      - .address_space:  global
        .offset:         8
        .size:           8
        .value_kind:     global_buffer
      - .offset:         16
        .size:           4
        .value_kind:     by_value
      - .offset:         20
        .size:           4
        .value_kind:     by_value
      - .offset:         24
        .size:           4
        .value_kind:     by_value
      - .address_space:  global
        .offset:         32
        .size:           8
        .value_kind:     global_buffer
      - .address_space:  global
        .offset:         40
        .size:           8
        .value_kind:     global_buffer
    .group_segment_fixed_size: 0
    .kernarg_segment_align: 8
    .kernarg_segment_size: 48
    .max_flat_workgroup_size: 512
    .name:           seeded_dropout_kernel
    .private_segment_fixed_size: 0
    .sgpr_count:     46
    .sgpr_spill_count: 0
    .symbol:         seeded_dropout_kernel.kd
    .uniform_work_group_size: 1
    .uses_dynamic_stack: false
    .vgpr_count:     24
    .vgpr_spill_count: 0
    .wavefront_size: 64
amdhsa.target:   amdgcn-amd-amdhsa--gfx950
amdhsa.version:
  - 1
  - 2
...

	.end_amdgpu_metadata
	.section	.debug_line,"",@progbits
.Lline_table_start0:
